;; amdgpu-corpus repo=ROCm/rocFFT kind=compiled arch=gfx906 opt=O3
	.text
	.amdgcn_target "amdgcn-amd-amdhsa--gfx906"
	.amdhsa_code_object_version 6
	.protected	bluestein_single_back_len308_dim1_dp_op_CI_CI ; -- Begin function bluestein_single_back_len308_dim1_dp_op_CI_CI
	.globl	bluestein_single_back_len308_dim1_dp_op_CI_CI
	.p2align	8
	.type	bluestein_single_back_len308_dim1_dp_op_CI_CI,@function
bluestein_single_back_len308_dim1_dp_op_CI_CI: ; @bluestein_single_back_len308_dim1_dp_op_CI_CI
; %bb.0:
	s_load_dwordx4 s[0:3], s[4:5], 0x28
	v_mul_u32_u24_e32 v1, 0x5d2, v0
	v_add_u32_sdwa v96, s6, v1 dst_sel:DWORD dst_unused:UNUSED_PAD src0_sel:DWORD src1_sel:WORD_1
	v_mov_b32_e32 v97, 0
	s_waitcnt lgkmcnt(0)
	v_cmp_gt_u64_e32 vcc, s[0:1], v[96:97]
	s_and_saveexec_b64 s[0:1], vcc
	s_cbranch_execz .LBB0_23
; %bb.1:
	s_load_dwordx2 s[12:13], s[4:5], 0x0
	s_load_dwordx2 s[6:7], s[4:5], 0x38
	v_mov_b32_e32 v2, 44
	v_mul_lo_u16_sdwa v1, v1, v2 dst_sel:DWORD dst_unused:UNUSED_PAD src0_sel:WORD_1 src1_sel:DWORD
	v_sub_u16_e32 v181, v0, v1
	v_cmp_gt_u16_e64 s[0:1], 28, v181
	v_lshlrev_b32_e32 v182, 4, v181
	s_and_saveexec_b64 s[14:15], s[0:1]
	s_cbranch_execz .LBB0_3
; %bb.2:
	s_load_dwordx2 s[8:9], s[4:5], 0x18
	v_or_b32_e32 v51, 0xe0, v181
	v_mov_b32_e32 v79, 0x380
	s_waitcnt lgkmcnt(0)
	v_mov_b32_e32 v78, s13
	s_load_dwordx4 s[8:11], s[8:9], 0x0
	s_waitcnt lgkmcnt(0)
	v_mad_u64_u32 v[0:1], s[16:17], s10, v96, 0
	v_mad_u64_u32 v[2:3], s[16:17], s8, v181, 0
	;; [unrolled: 1-line block ×4, first 2 shown]
	v_mov_b32_e32 v1, v4
	v_lshlrev_b64 v[0:1], 4, v[0:1]
	v_mov_b32_e32 v3, v5
	v_mov_b32_e32 v6, s3
	v_lshlrev_b64 v[2:3], 4, v[2:3]
	v_add_co_u32_e32 v66, vcc, s2, v0
	v_addc_co_u32_e32 v67, vcc, v6, v1, vcc
	v_add_co_u32_e32 v16, vcc, v66, v2
	s_mul_i32 s3, s9, 0x1c0
	s_mul_hi_u32 s10, s8, 0x1c0
	v_addc_co_u32_e32 v17, vcc, v67, v3, vcc
	s_mul_i32 s2, s8, 0x1c0
	s_add_i32 s3, s10, s3
	v_mov_b32_e32 v8, s3
	v_add_co_u32_e32 v18, vcc, s2, v16
	global_load_dwordx4 v[0:3], v182, s[12:13]
	global_load_dwordx4 v[4:7], v182, s[12:13] offset:448
	v_addc_co_u32_e32 v19, vcc, v17, v8, vcc
	global_load_dwordx4 v[8:11], v[16:17], off
	global_load_dwordx4 v[12:15], v[18:19], off
	v_mov_b32_e32 v16, s3
	v_add_co_u32_e32 v32, vcc, s2, v18
	v_addc_co_u32_e32 v33, vcc, v19, v16, vcc
	v_mad_u64_u32 v[64:65], s[10:11], s8, v51, 0
	v_mov_b32_e32 v24, s3
	v_add_co_u32_e32 v34, vcc, s2, v32
	v_addc_co_u32_e32 v35, vcc, v33, v24, vcc
	global_load_dwordx4 v[16:19], v182, s[12:13] offset:896
	global_load_dwordx4 v[20:23], v182, s[12:13] offset:1344
	global_load_dwordx4 v[24:27], v[32:33], off
	global_load_dwordx4 v[28:31], v[34:35], off
	v_mov_b32_e32 v32, s3
	v_add_co_u32_e32 v44, vcc, s2, v34
	v_addc_co_u32_e32 v45, vcc, v35, v32, vcc
	v_mov_b32_e32 v50, v65
	v_mov_b32_e32 v46, s3
	v_add_co_u32_e32 v48, vcc, s2, v44
	v_mad_u64_u32 v[60:61], s[10:11], s9, v51, v[50:51]
	v_addc_co_u32_e32 v49, vcc, v45, v46, vcc
	v_mov_b32_e32 v53, s3
	v_add_co_u32_e32 v52, vcc, s2, v48
	v_addc_co_u32_e32 v53, vcc, v49, v53, vcc
	v_mov_b32_e32 v54, s3
	v_add_co_u32_e32 v76, vcc, s2, v52
	v_mov_b32_e32 v65, v60
	v_addc_co_u32_e32 v77, vcc, v53, v54, vcc
	v_lshlrev_b64 v[64:65], 4, v[64:65]
	global_load_dwordx4 v[32:35], v[44:45], off
	global_load_dwordx4 v[36:39], v182, s[12:13] offset:1792
	global_load_dwordx4 v[40:43], v182, s[12:13] offset:2240
	v_mad_u64_u32 v[80:81], s[10:11], s8, v79, v[76:77]
	global_load_dwordx4 v[44:47], v[48:49], off
	v_add_co_u32_e32 v64, vcc, v66, v64
	v_addc_co_u32_e32 v65, vcc, v67, v65, vcc
	v_add_co_u32_e32 v84, vcc, s12, v182
	s_mul_i32 s8, s9, 0x380
	v_addc_co_u32_e32 v85, vcc, 0, v78, vcc
	v_add_u32_e32 v81, s8, v81
	global_load_dwordx4 v[48:51], v[52:53], off
	s_nop 0
	global_load_dwordx4 v[52:55], v182, s[12:13] offset:2688
	global_load_dwordx4 v[56:59], v182, s[12:13] offset:3136
	global_load_dwordx4 v[60:63], v[76:77], off
	v_mov_b32_e32 v82, s3
	global_load_dwordx4 v[64:67], v[64:65], off
	s_nop 0
	global_load_dwordx4 v[68:71], v182, s[12:13] offset:3584
	global_load_dwordx4 v[72:75], v182, s[12:13] offset:4032
	global_load_dwordx4 v[76:79], v[80:81], off
	v_add_co_u32_e32 v80, vcc, s2, v80
	v_addc_co_u32_e32 v81, vcc, v81, v82, vcc
	s_movk_i32 s2, 0x1000
	v_add_co_u32_e32 v84, vcc, s2, v84
	v_addc_co_u32_e32 v85, vcc, 0, v85, vcc
	global_load_dwordx4 v[80:83], v[80:81], off
	s_waitcnt vmcnt(18)
	v_mul_f64 v[88:89], v[10:11], v[2:3]
	global_load_dwordx4 v[84:87], v[84:85], off offset:384
	v_mul_f64 v[2:3], v[8:9], v[2:3]
	v_fma_f64 v[8:9], v[8:9], v[0:1], v[88:89]
	s_waitcnt vmcnt(18)
	v_mul_f64 v[88:89], v[14:15], v[6:7]
	v_mul_f64 v[6:7], v[12:13], v[6:7]
	v_fma_f64 v[10:11], v[10:11], v[0:1], -v[2:3]
	s_waitcnt vmcnt(15)
	v_mul_f64 v[90:91], v[26:27], v[18:19]
	v_mul_f64 v[18:19], v[24:25], v[18:19]
	s_waitcnt vmcnt(14)
	v_mul_f64 v[92:93], v[30:31], v[22:23]
	v_mul_f64 v[22:23], v[28:29], v[22:23]
	v_fma_f64 v[2:3], v[14:15], v[4:5], -v[6:7]
	v_fma_f64 v[0:1], v[12:13], v[4:5], v[88:89]
	v_fma_f64 v[4:5], v[24:25], v[16:17], v[90:91]
	v_fma_f64 v[6:7], v[26:27], v[16:17], -v[18:19]
	v_fma_f64 v[12:13], v[28:29], v[20:21], v[92:93]
	v_fma_f64 v[14:15], v[30:31], v[20:21], -v[22:23]
	ds_write_b128 v182, v[8:11]
	ds_write_b128 v182, v[0:3] offset:448
	ds_write_b128 v182, v[4:7] offset:896
	s_waitcnt vmcnt(12)
	v_mul_f64 v[94:95], v[34:35], v[38:39]
	v_mul_f64 v[18:19], v[32:33], v[38:39]
	s_waitcnt vmcnt(10)
	v_mul_f64 v[20:21], v[46:47], v[42:43]
	v_mul_f64 v[22:23], v[44:45], v[42:43]
	v_fma_f64 v[16:17], v[32:33], v[36:37], v[94:95]
	v_fma_f64 v[18:19], v[34:35], v[36:37], -v[18:19]
	v_fma_f64 v[20:21], v[44:45], v[40:41], v[20:21]
	v_fma_f64 v[22:23], v[46:47], v[40:41], -v[22:23]
	s_waitcnt vmcnt(8)
	v_mul_f64 v[24:25], v[50:51], v[54:55]
	v_mul_f64 v[26:27], v[48:49], v[54:55]
	s_waitcnt vmcnt(6)
	v_mul_f64 v[28:29], v[62:63], v[58:59]
	v_mul_f64 v[30:31], v[60:61], v[58:59]
	;; [unrolled: 3-line block ×4, first 2 shown]
	v_fma_f64 v[24:25], v[48:49], v[52:53], v[24:25]
	v_fma_f64 v[26:27], v[50:51], v[52:53], -v[26:27]
	v_fma_f64 v[28:29], v[60:61], v[56:57], v[28:29]
	v_fma_f64 v[30:31], v[62:63], v[56:57], -v[30:31]
	;; [unrolled: 2-line block ×4, first 2 shown]
	s_waitcnt vmcnt(0)
	v_mul_f64 v[40:41], v[82:83], v[86:87]
	v_mul_f64 v[42:43], v[80:81], v[86:87]
	v_fma_f64 v[4:5], v[80:81], v[84:85], v[40:41]
	v_fma_f64 v[6:7], v[82:83], v[84:85], -v[42:43]
	ds_write_b128 v182, v[12:15] offset:1344
	ds_write_b128 v182, v[16:19] offset:1792
	;; [unrolled: 1-line block ×8, first 2 shown]
.LBB0_3:
	s_or_b64 exec, exec, s[14:15]
	s_load_dwordx2 s[2:3], s[4:5], 0x20
	s_load_dwordx2 s[14:15], s[4:5], 0x8
	s_waitcnt lgkmcnt(0)
	; wave barrier
	s_waitcnt lgkmcnt(0)
                                        ; implicit-def: $vgpr12_vgpr13
                                        ; implicit-def: $vgpr16_vgpr17
                                        ; implicit-def: $vgpr20_vgpr21
                                        ; implicit-def: $vgpr32_vgpr33
                                        ; implicit-def: $vgpr44_vgpr45
                                        ; implicit-def: $vgpr48_vgpr49
                                        ; implicit-def: $vgpr52_vgpr53
                                        ; implicit-def: $vgpr40_vgpr41
                                        ; implicit-def: $vgpr36_vgpr37
                                        ; implicit-def: $vgpr28_vgpr29
                                        ; implicit-def: $vgpr24_vgpr25
	s_and_saveexec_b64 s[4:5], s[0:1]
	s_cbranch_execz .LBB0_5
; %bb.4:
	ds_read_b128 v[12:15], v182
	ds_read_b128 v[24:27], v182 offset:448
	ds_read_b128 v[28:31], v182 offset:896
	;; [unrolled: 1-line block ×10, first 2 shown]
.LBB0_5:
	s_or_b64 exec, exec, s[4:5]
	s_waitcnt lgkmcnt(0)
	v_add_f64 v[80:81], v[26:27], -v[54:55]
	s_mov_b32 s22, 0xf8bb580b
	s_mov_b32 s23, 0xbfe14ced
	v_add_f64 v[72:73], v[52:53], v[24:25]
	v_add_f64 v[109:110], v[30:31], -v[50:51]
	s_mov_b32 s8, 0x8764f0ba
	s_mov_b32 s18, 0x8eee2c13
	;; [unrolled: 1-line block ×3, first 2 shown]
	v_mul_f64 v[56:57], v[80:81], s[22:23]
	s_mov_b32 s19, 0xbfed1bb4
	v_add_f64 v[97:98], v[24:25], -v[52:53]
	v_add_f64 v[92:93], v[48:49], v[28:29]
	v_mul_f64 v[58:59], v[109:110], s[18:19]
	v_add_f64 v[131:132], v[18:19], -v[46:47]
	s_mov_b32 s4, 0xd9c712b6
	s_mov_b32 s10, 0x43842ef
	v_fma_f64 v[0:1], v[72:73], s[8:9], v[56:57]
	s_mov_b32 s5, 0x3fda9628
	s_mov_b32 s11, 0xbfefac9e
	v_add_f64 v[127:128], v[54:55], v[26:27]
	v_add_f64 v[99:100], v[28:29], -v[48:49]
	v_fma_f64 v[4:5], v[92:93], s[4:5], v[58:59]
	v_add_f64 v[94:95], v[16:17], v[44:45]
	v_mul_f64 v[68:69], v[131:132], s[10:11]
	v_add_f64 v[0:1], v[12:13], v[0:1]
	v_add_f64 v[123:124], v[22:23], -v[34:35]
	v_mul_f64 v[82:83], v[80:81], s[18:19]
	v_mul_f64 v[121:122], v[97:98], s[18:19]
	s_mov_b32 s16, 0x640f44db
	s_mov_b32 s26, 0xbb3a28a1
	;; [unrolled: 1-line block ×4, first 2 shown]
	v_add_f64 v[129:130], v[50:51], v[30:31]
	v_add_f64 v[119:120], v[16:17], -v[44:45]
	v_add_f64 v[0:1], v[4:5], v[0:1]
	v_fma_f64 v[4:5], v[94:95], s[16:17], v[68:69]
	v_add_f64 v[111:112], v[20:21], v[32:33]
	v_mul_f64 v[74:75], v[123:124], s[26:27]
	v_fma_f64 v[8:9], v[72:73], s[4:5], v[82:83]
	v_mul_f64 v[86:87], v[109:110], s[26:27]
	v_fma_f64 v[10:11], v[127:128], s[4:5], -v[121:122]
	v_mul_f64 v[101:102], v[99:100], s[26:27]
	s_mov_b32 s24, 0x7f775887
	s_mov_b32 s38, 0xfd768dbf
	;; [unrolled: 1-line block ×4, first 2 shown]
	v_add_f64 v[137:138], v[18:19], v[46:47]
	v_add_f64 v[115:116], v[20:21], -v[32:33]
	v_add_f64 v[0:1], v[4:5], v[0:1]
	v_fma_f64 v[4:5], v[111:112], s[24:25], v[74:75]
	v_add_f64 v[8:9], v[12:13], v[8:9]
	v_fma_f64 v[60:61], v[92:93], s[24:25], v[86:87]
	v_add_f64 v[10:11], v[14:15], v[10:11]
	v_fma_f64 v[62:63], v[129:130], s[24:25], -v[101:102]
	v_mul_f64 v[88:89], v[131:132], s[38:39]
	v_mul_f64 v[105:106], v[119:120], s[38:39]
	s_mov_b32 s28, 0x9bcd5057
	s_mov_b32 s29, 0xbfeeb42a
	;; [unrolled: 1-line block ×4, first 2 shown]
	v_add_f64 v[143:144], v[22:23], v[34:35]
	v_add_f64 v[0:1], v[4:5], v[0:1]
	;; [unrolled: 1-line block ×4, first 2 shown]
	v_fma_f64 v[10:11], v[94:95], s[28:29], v[88:89]
	v_fma_f64 v[60:61], v[137:138], s[28:29], -v[105:106]
	v_mul_f64 v[90:91], v[123:124], s[30:31]
	v_mul_f64 v[107:108], v[115:116], s[30:31]
	;; [unrolled: 1-line block ×6, first 2 shown]
	v_add_f64 v[4:5], v[10:11], v[4:5]
	v_add_f64 v[8:9], v[60:61], v[8:9]
	v_fma_f64 v[10:11], v[111:112], s[16:17], v[90:91]
	v_fma_f64 v[60:61], v[143:144], s[16:17], -v[107:108]
	v_fma_f64 v[133:134], v[72:73], s[16:17], v[117:118]
	v_mul_f64 v[161:162], v[80:81], s[26:27]
	v_mul_f64 v[171:172], v[97:98], s[26:27]
	s_mov_b32 s37, 0x3fed1bb4
	s_mov_b32 s36, s18
	v_fma_f64 v[2:3], v[127:128], s[8:9], -v[64:65]
	v_mul_f64 v[66:67], v[99:100], s[18:19]
	v_add_f64 v[4:5], v[10:11], v[4:5]
	v_fma_f64 v[10:11], v[127:128], s[16:17], -v[157:158]
	v_add_f64 v[60:61], v[60:61], v[8:9]
	v_mul_f64 v[159:160], v[99:100], s[38:39]
	v_add_f64 v[8:9], v[12:13], v[133:134]
	v_fma_f64 v[139:140], v[92:93], s[28:29], v[125:126]
	v_mul_f64 v[133:134], v[131:132], s[36:37]
	v_fma_f64 v[149:150], v[72:73], s[24:25], v[161:162]
	v_mul_f64 v[163:164], v[109:110], s[30:31]
	v_fma_f64 v[153:154], v[127:128], s[24:25], -v[171:172]
	v_mul_f64 v[173:174], v[99:100], s[30:31]
	v_add_f64 v[2:3], v[14:15], v[2:3]
	v_fma_f64 v[6:7], v[129:130], s[4:5], -v[66:67]
	v_mul_f64 v[70:71], v[119:120], s[10:11]
	v_add_f64 v[10:11], v[14:15], v[10:11]
	;; [unrolled: 3-line block ×3, first 2 shown]
	v_fma_f64 v[139:140], v[94:95], s[4:5], v[133:134]
	v_add_f64 v[165:166], v[12:13], v[149:150]
	v_fma_f64 v[169:170], v[92:93], s[16:17], v[163:164]
	v_add_f64 v[153:154], v[14:15], v[153:154]
	v_fma_f64 v[175:176], v[129:130], s[16:17], -v[173:174]
	v_mul_f64 v[167:168], v[131:132], s[22:23]
	v_mul_f64 v[177:178], v[119:120], s[22:23]
	s_mov_b32 s35, 0xbfd207e7
	s_mov_b32 s34, s38
	v_add_f64 v[2:3], v[6:7], v[2:3]
	v_fma_f64 v[6:7], v[137:138], s[16:17], -v[70:71]
	v_mul_f64 v[76:77], v[115:116], s[26:27]
	v_add_f64 v[151:152], v[38:39], -v[42:43]
	v_add_f64 v[141:142], v[36:37], -v[40:41]
	v_add_f64 v[10:11], v[147:148], v[10:11]
	v_fma_f64 v[147:148], v[137:138], s[4:5], -v[145:146]
	v_add_f64 v[8:9], v[139:140], v[8:9]
	v_mul_f64 v[139:140], v[123:124], s[22:23]
	v_mul_f64 v[149:150], v[115:116], s[22:23]
	v_add_f64 v[169:170], v[169:170], v[165:166]
	v_add_f64 v[179:180], v[175:176], v[153:154]
	v_fma_f64 v[187:188], v[94:95], s[8:9], v[167:168]
	v_fma_f64 v[189:190], v[137:138], s[8:9], -v[177:178]
	v_mul_f64 v[165:166], v[123:124], s[34:35]
	v_mul_f64 v[175:176], v[115:116], s[34:35]
	s_mov_b32 s41, 0x3fe14ced
	s_mov_b32 s40, s22
	v_add_f64 v[2:3], v[6:7], v[2:3]
	v_fma_f64 v[6:7], v[143:144], s[24:25], -v[76:77]
	v_add_f64 v[135:136], v[40:41], v[36:37]
	v_mul_f64 v[78:79], v[151:152], s[34:35]
	v_add_f64 v[155:156], v[42:43], v[38:39]
	v_mul_f64 v[84:85], v[141:142], s[34:35]
	v_mul_f64 v[103:104], v[151:152], s[40:41]
	;; [unrolled: 1-line block ×3, first 2 shown]
	v_add_f64 v[10:11], v[147:148], v[10:11]
	v_fma_f64 v[191:192], v[111:112], s[8:9], v[139:140]
	v_fma_f64 v[193:194], v[143:144], s[8:9], -v[149:150]
	v_mul_f64 v[147:148], v[151:152], s[26:27]
	v_mul_f64 v[153:154], v[141:142], s[26:27]
	v_add_f64 v[187:188], v[187:188], v[169:170]
	v_add_f64 v[189:190], v[189:190], v[179:180]
	v_fma_f64 v[195:196], v[111:112], s[28:29], v[165:166]
	v_fma_f64 v[197:198], v[143:144], s[28:29], -v[175:176]
	v_mul_f64 v[169:170], v[151:152], s[36:37]
	v_mul_f64 v[179:180], v[141:142], s[36:37]
	v_add_f64 v[2:3], v[6:7], v[2:3]
	v_fma_f64 v[6:7], v[135:136], s[28:29], v[78:79]
	v_fma_f64 v[62:63], v[155:156], s[28:29], -v[84:85]
	v_fma_f64 v[183:184], v[135:136], s[8:9], v[103:104]
	v_fma_f64 v[185:186], v[155:156], s[8:9], -v[113:114]
	v_add_f64 v[191:192], v[191:192], v[8:9]
	v_add_f64 v[193:194], v[193:194], v[10:11]
	v_fma_f64 v[199:200], v[135:136], s[24:25], v[147:148]
	v_fma_f64 v[201:202], v[155:156], s[24:25], -v[153:154]
	v_add_f64 v[187:188], v[195:196], v[187:188]
	v_add_f64 v[189:190], v[197:198], v[189:190]
	v_fma_f64 v[195:196], v[135:136], s[4:5], v[169:170]
	v_fma_f64 v[197:198], v[155:156], s[4:5], -v[179:180]
	v_add_f64 v[8:9], v[6:7], v[0:1]
	v_add_f64 v[10:11], v[62:63], v[2:3]
	v_add_f64 v[4:5], v[183:184], v[4:5]
	v_add_f64 v[6:7], v[185:186], v[60:61]
	;; [unrolled: 1-line block ×6, first 2 shown]
	v_mul_lo_u16_e32 v183, 11, v181
	s_waitcnt lgkmcnt(0)
	; wave barrier
	s_and_saveexec_b64 s[20:21], s[0:1]
	s_cbranch_execz .LBB0_7
; %bb.6:
	v_mul_f64 v[186:187], v[127:128], s[8:9]
	v_mul_f64 v[190:191], v[127:128], s[4:5]
	;; [unrolled: 1-line block ×12, first 2 shown]
	v_fma_f64 v[228:229], v[97:98], s[38:39], v[127:128]
	v_mul_f64 v[222:223], v[137:138], s[28:29]
	v_mul_f64 v[226:227], v[137:138], s[4:5]
	;; [unrolled: 1-line block ×4, first 2 shown]
	v_fma_f64 v[238:239], v[99:100], s[22:23], v[129:130]
	v_mul_f64 v[109:110], v[109:110], s[40:41]
	v_fma_f64 v[242:243], v[72:73], s[28:29], v[80:81]
	v_add_f64 v[228:229], v[14:15], v[228:229]
	s_mov_b32 s23, 0x3fe82f19
	s_mov_b32 s22, s26
	v_mul_f64 v[131:132], v[131:132], s[26:27]
	v_fma_f64 v[246:247], v[119:120], s[22:23], v[137:138]
	v_mul_f64 v[244:245], v[143:144], s[4:5]
	v_fma_f64 v[97:98], v[97:98], s[34:35], v[127:128]
	v_add_f64 v[242:243], v[12:13], v[242:243]
	v_add_f64 v[228:229], v[238:239], v[228:229]
	v_fma_f64 v[238:239], v[92:93], s[8:9], v[109:110]
	v_add_f64 v[171:172], v[171:172], v[198:199]
	v_add_f64 v[26:27], v[14:15], v[26:27]
	v_add_f64 v[24:25], v[12:13], v[24:25]
	v_fma_f64 v[127:128], v[115:116], s[18:19], v[244:245]
	v_mul_f64 v[192:193], v[72:73], s[16:17]
	v_mul_f64 v[196:197], v[72:73], s[24:25]
	v_add_f64 v[228:229], v[246:247], v[228:229]
	v_fma_f64 v[246:247], v[94:95], s[24:25], v[131:132]
	v_add_f64 v[238:239], v[238:239], v[242:243]
	v_fma_f64 v[99:100], v[99:100], s[40:41], v[129:130]
	v_add_f64 v[97:98], v[14:15], v[97:98]
	v_fma_f64 v[80:81], v[72:73], s[28:29], -v[80:81]
	v_add_f64 v[173:174], v[173:174], v[214:215]
	v_add_f64 v[171:172], v[14:15], v[171:172]
	;; [unrolled: 1-line block ×5, first 2 shown]
	v_mul_f64 v[246:247], v[155:156], s[16:17]
	v_add_f64 v[24:25], v[28:29], v[24:25]
	v_mul_f64 v[208:209], v[92:93], s[28:29]
	v_add_f64 v[117:118], v[192:193], -v[117:118]
	v_mul_f64 v[184:185], v[72:73], s[8:9]
	v_mul_f64 v[188:189], v[72:73], s[4:5]
	;; [unrolled: 1-line block ×4, first 2 shown]
	v_fma_f64 v[198:199], v[141:142], s[30:31], v[246:247]
	v_mul_f64 v[212:213], v[92:93], s[16:17]
	v_mul_f64 v[236:237], v[143:144], s[24:25]
	;; [unrolled: 1-line block ×5, first 2 shown]
	v_fma_f64 v[119:120], v[119:120], s[26:27], v[137:138]
	v_add_f64 v[97:98], v[99:100], v[97:98]
	v_fma_f64 v[92:93], v[92:93], s[8:9], -v[109:110]
	v_add_f64 v[72:73], v[198:199], v[127:128]
	v_add_f64 v[80:81], v[12:13], v[80:81]
	;; [unrolled: 1-line block ×3, first 2 shown]
	v_add_f64 v[161:162], v[196:197], -v[161:162]
	v_add_f64 v[171:172], v[173:174], v[171:172]
	v_add_f64 v[18:19], v[18:19], v[26:27]
	;; [unrolled: 1-line block ×3, first 2 shown]
	v_mul_f64 v[224:225], v[94:95], s[4:5]
	v_add_f64 v[30:31], v[208:209], -v[125:126]
	v_add_f64 v[117:118], v[12:13], v[117:118]
	v_mul_f64 v[216:217], v[94:95], s[16:17]
	v_mul_f64 v[220:221], v[94:95], s[28:29]
	;; [unrolled: 1-line block ×8, first 2 shown]
	v_fma_f64 v[115:116], v[115:116], s[36:37], v[244:245]
	v_add_f64 v[97:98], v[119:120], v[97:98]
	v_fma_f64 v[94:95], v[94:95], s[24:25], -v[131:132]
	v_add_f64 v[80:81], v[92:93], v[80:81]
	v_add_f64 v[92:93], v[175:176], v[143:144]
	v_add_f64 v[119:120], v[212:213], -v[163:164]
	v_add_f64 v[131:132], v[12:13], v[161:162]
	v_add_f64 v[127:128], v[127:128], v[171:172]
	;; [unrolled: 1-line block ×4, first 2 shown]
	v_add_f64 v[26:27], v[224:225], -v[133:134]
	v_add_f64 v[30:31], v[30:31], v[117:118]
	v_mul_f64 v[234:235], v[111:112], s[24:25]
	v_mul_f64 v[240:241], v[111:112], s[16:17]
	;; [unrolled: 1-line block ×4, first 2 shown]
	v_fma_f64 v[196:197], v[111:112], s[4:5], v[123:124]
	v_add_f64 v[97:98], v[115:116], v[97:98]
	v_fma_f64 v[111:112], v[111:112], s[4:5], -v[123:124]
	v_add_f64 v[94:95], v[94:95], v[80:81]
	v_add_f64 v[115:116], v[179:180], v[155:156]
	v_add_f64 v[123:124], v[230:231], -v[167:168]
	v_add_f64 v[119:120], v[119:120], v[131:132]
	v_add_f64 v[92:93], v[92:93], v[127:128]
	;; [unrolled: 1-line block ×8, first 2 shown]
	v_add_f64 v[36:37], v[184:185], -v[56:57]
	v_add_f64 v[38:39], v[188:189], -v[82:83]
	v_add_f64 v[94:95], v[111:112], v[94:95]
	v_add_f64 v[111:112], v[242:243], -v[165:166]
	v_add_f64 v[119:120], v[123:124], v[119:120]
	v_add_f64 v[92:93], v[115:116], v[92:93]
	;; [unrolled: 1-line block ×10, first 2 shown]
	v_add_f64 v[30:31], v[200:201], -v[58:59]
	v_add_f64 v[36:37], v[12:13], v[36:37]
	v_add_f64 v[56:57], v[204:205], -v[86:87]
	v_add_f64 v[12:13], v[12:13], v[38:39]
	v_add_f64 v[111:112], v[111:112], v[119:120]
	;; [unrolled: 1-line block ×10, first 2 shown]
	v_add_f64 v[42:43], v[216:217], -v[68:69]
	v_add_f64 v[30:31], v[30:31], v[36:37]
	v_add_f64 v[38:39], v[220:221], -v[88:89]
	v_add_f64 v[12:13], v[56:57], v[12:13]
	v_add_f64 v[28:29], v[149:150], v[252:253]
	;; [unrolled: 1-line block ×7, first 2 shown]
	v_mul_f64 v[129:130], v[135:136], s[28:29]
	v_add_f64 v[34:35], v[76:77], v[236:237]
	v_add_f64 v[14:15], v[40:41], v[14:15]
	v_add_f64 v[36:37], v[234:235], -v[74:75]
	v_add_f64 v[30:31], v[42:43], v[30:31]
	v_mul_f64 v[137:138], v[135:136], s[8:9]
	v_add_f64 v[32:33], v[240:241], -v[90:91]
	v_add_f64 v[12:13], v[38:39], v[12:13]
	v_mul_f64 v[109:110], v[135:136], s[24:25]
	v_add_f64 v[20:21], v[250:251], -v[139:140]
	v_mul_f64 v[214:215], v[135:136], s[4:5]
	v_mul_f64 v[151:152], v[151:152], s[10:11]
	v_fma_f64 v[141:142], v[141:142], s[10:11], v[246:247]
	v_add_f64 v[24:25], v[153:154], v[254:255]
	v_add_f64 v[28:29], v[28:29], v[115:116]
	;; [unrolled: 1-line block ×8, first 2 shown]
	v_add_f64 v[42:43], v[129:130], -v[78:79]
	v_add_f64 v[30:31], v[36:37], v[30:31]
	v_add_f64 v[38:39], v[137:138], -v[103:104]
	v_add_f64 v[12:13], v[32:33], v[12:13]
	;; [unrolled: 2-line block ×4, first 2 shown]
	v_fma_f64 v[97:98], v[135:136], s[16:17], -v[151:152]
	v_fma_f64 v[177:178], v[135:136], s[16:17], v[151:152]
	v_add_f64 v[127:128], v[196:197], v[238:239]
	v_add_f64 v[14:15], v[24:25], v[28:29]
	;; [unrolled: 1-line block ×12, first 2 shown]
	v_lshlrev_b32_e32 v28, 4, v183
	ds_write_b128 v28, v[24:27]
	ds_write_b128 v28, v[20:23] offset:16
	ds_write_b128 v28, v[16:19] offset:32
	ds_write_b128 v28, v[12:15] offset:48
	ds_write_b128 v28, v[90:93] offset:64
	ds_write_b128 v28, v[78:81] offset:80
	ds_write_b128 v28, v[70:73] offset:96
	ds_write_b128 v28, v[60:63] offset:112
	ds_write_b128 v28, v[0:3] offset:128
	ds_write_b128 v28, v[4:7] offset:144
	ds_write_b128 v28, v[8:11] offset:160
.LBB0_7:
	s_or_b64 exec, exec, s[20:21]
	s_load_dwordx4 s[8:11], s[2:3], 0x0
	s_movk_i32 s2, 0x75
	v_mul_lo_u16_sdwa v12, v181, s2 dst_sel:DWORD dst_unused:UNUSED_PAD src0_sel:BYTE_0 src1_sel:DWORD
	v_sub_u16_sdwa v13, v181, v12 dst_sel:DWORD dst_unused:UNUSED_PAD src0_sel:DWORD src1_sel:BYTE_1
	v_lshrrev_b16_e32 v13, 1, v13
	v_and_b32_e32 v13, 0x7f, v13
	v_add_u16_sdwa v12, v13, v12 dst_sel:DWORD dst_unused:UNUSED_PAD src0_sel:DWORD src1_sel:BYTE_1
	v_lshrrev_b16_e32 v68, 3, v12
	v_mul_lo_u16_e32 v12, 11, v68
	v_sub_u16_e32 v12, v181, v12
	v_and_b32_e32 v92, 0xff, v12
	v_mul_u32_u24_e32 v12, 6, v92
	v_lshlrev_b32_e32 v36, 4, v12
	s_waitcnt lgkmcnt(0)
	; wave barrier
	s_waitcnt lgkmcnt(0)
	global_load_dwordx4 v[24:27], v36, s[14:15]
	global_load_dwordx4 v[20:23], v36, s[14:15] offset:16
	global_load_dwordx4 v[16:19], v36, s[14:15] offset:32
	;; [unrolled: 1-line block ×5, first 2 shown]
	ds_read_b128 v[36:39], v182
	ds_read_b128 v[40:43], v182 offset:704
	ds_read_b128 v[44:47], v182 offset:1408
	;; [unrolled: 1-line block ×6, first 2 shown]
	v_mul_u32_u24_e32 v93, 0x4d, v68
	s_mov_b32 s4, 0x37e14327
	s_mov_b32 s2, 0x36b3c0b5
	;; [unrolled: 1-line block ×16, first 2 shown]
	v_add_lshl_u32 v157, v93, v92, 4
	s_waitcnt lgkmcnt(0)
	; wave barrier
	s_waitcnt vmcnt(5) lgkmcnt(0)
	v_mul_f64 v[68:69], v[42:43], v[26:27]
	v_mul_f64 v[70:71], v[40:41], v[26:27]
	s_waitcnt vmcnt(4)
	v_mul_f64 v[72:73], v[46:47], v[22:23]
	v_mul_f64 v[74:75], v[44:45], v[22:23]
	s_waitcnt vmcnt(1)
	v_mul_f64 v[84:85], v[66:67], v[30:31]
	v_mul_f64 v[86:87], v[64:65], v[30:31]
	s_waitcnt vmcnt(0)
	v_mul_f64 v[88:89], v[58:59], v[34:35]
	v_mul_f64 v[90:91], v[56:57], v[34:35]
	;; [unrolled: 1-line block ×6, first 2 shown]
	v_fma_f64 v[40:41], v[40:41], v[24:25], -v[68:69]
	v_fma_f64 v[42:43], v[42:43], v[24:25], v[70:71]
	v_fma_f64 v[44:45], v[44:45], v[20:21], -v[72:73]
	v_fma_f64 v[46:47], v[46:47], v[20:21], v[74:75]
	;; [unrolled: 2-line block ×6, first 2 shown]
	v_add_f64 v[68:69], v[40:41], v[64:65]
	v_add_f64 v[70:71], v[42:43], v[66:67]
	v_add_f64 v[40:41], v[40:41], -v[64:65]
	v_add_f64 v[42:43], v[42:43], -v[66:67]
	v_add_f64 v[64:65], v[44:45], v[56:57]
	v_add_f64 v[66:67], v[46:47], v[58:59]
	v_add_f64 v[44:45], v[44:45], -v[56:57]
	v_add_f64 v[46:47], v[46:47], -v[58:59]
	;; [unrolled: 4-line block ×4, first 2 shown]
	v_add_f64 v[68:69], v[68:69], -v[56:57]
	v_add_f64 v[70:71], v[70:71], -v[58:59]
	;; [unrolled: 1-line block ×4, first 2 shown]
	v_add_f64 v[76:77], v[48:49], v[44:45]
	v_add_f64 v[78:79], v[50:51], v[46:47]
	v_add_f64 v[80:81], v[48:49], -v[44:45]
	v_add_f64 v[82:83], v[50:51], -v[46:47]
	v_add_f64 v[52:53], v[56:57], v[52:53]
	v_add_f64 v[54:55], v[58:59], v[54:55]
	v_add_f64 v[44:45], v[44:45], -v[40:41]
	v_add_f64 v[46:47], v[46:47], -v[42:43]
	;; [unrolled: 1-line block ×4, first 2 shown]
	v_add_f64 v[40:41], v[76:77], v[40:41]
	v_add_f64 v[42:43], v[78:79], v[42:43]
	v_mul_f64 v[56:57], v[68:69], s[4:5]
	v_mul_f64 v[58:59], v[70:71], s[4:5]
	;; [unrolled: 1-line block ×6, first 2 shown]
	v_add_f64 v[36:37], v[36:37], v[52:53]
	v_add_f64 v[38:39], v[38:39], v[54:55]
	v_mul_f64 v[80:81], v[44:45], s[16:17]
	v_mul_f64 v[82:83], v[46:47], s[16:17]
	v_fma_f64 v[64:65], v[64:65], s[2:3], v[56:57]
	v_fma_f64 v[66:67], v[66:67], s[2:3], v[58:59]
	v_fma_f64 v[68:69], v[72:73], s[22:23], -v[68:69]
	v_fma_f64 v[70:71], v[74:75], s[22:23], -v[70:71]
	s_mov_b32 s23, 0xbfe77f67
	v_fma_f64 v[84:85], v[48:49], s[24:25], v[76:77]
	v_fma_f64 v[86:87], v[50:51], s[24:25], v[78:79]
	s_mov_b32 s25, 0xbfd5d0dc
	v_fma_f64 v[52:53], v[52:53], s[18:19], v[36:37]
	v_fma_f64 v[54:55], v[54:55], s[18:19], v[38:39]
	v_fma_f64 v[56:57], v[72:73], s[22:23], -v[56:57]
	v_fma_f64 v[58:59], v[74:75], s[22:23], -v[58:59]
	;; [unrolled: 1-line block ×6, first 2 shown]
	v_fma_f64 v[78:79], v[40:41], s[26:27], v[84:85]
	v_fma_f64 v[76:77], v[42:43], s[26:27], v[86:87]
	v_add_f64 v[84:85], v[64:65], v[52:53]
	v_add_f64 v[86:87], v[66:67], v[54:55]
	v_fma_f64 v[80:81], v[40:41], s[26:27], v[48:49]
	v_fma_f64 v[82:83], v[42:43], s[26:27], v[50:51]
	v_add_f64 v[56:57], v[56:57], v[52:53]
	v_add_f64 v[58:59], v[58:59], v[54:55]
	v_fma_f64 v[72:73], v[40:41], s[26:27], v[44:45]
	v_fma_f64 v[74:75], v[42:43], s[26:27], v[46:47]
	v_add_f64 v[52:53], v[68:69], v[52:53]
	v_add_f64 v[54:55], v[70:71], v[54:55]
	v_add_f64 v[40:41], v[76:77], v[84:85]
	v_add_f64 v[42:43], v[86:87], -v[78:79]
	v_add_f64 v[44:45], v[82:83], v[56:57]
	v_add_f64 v[46:47], v[58:59], -v[80:81]
	v_add_f64 v[76:77], v[84:85], -v[76:77]
	v_add_f64 v[78:79], v[78:79], v[86:87]
	v_add_f64 v[48:49], v[52:53], -v[74:75]
	v_add_f64 v[50:51], v[72:73], v[54:55]
	v_add_f64 v[64:65], v[74:75], v[52:53]
	v_add_f64 v[66:67], v[54:55], -v[72:73]
	v_add_f64 v[72:73], v[56:57], -v[82:83]
	v_add_f64 v[74:75], v[80:81], v[58:59]
	ds_write_b128 v157, v[36:39]
	ds_write_b128 v157, v[40:43] offset:176
	ds_write_b128 v157, v[44:47] offset:352
	;; [unrolled: 1-line block ×6, first 2 shown]
	s_waitcnt lgkmcnt(0)
	; wave barrier
	s_waitcnt lgkmcnt(0)
	ds_read_b128 v[68:71], v182
	ds_read_b128 v[88:91], v182 offset:1232
	ds_read_b128 v[84:87], v182 offset:2464
	;; [unrolled: 1-line block ×3, first 2 shown]
	v_cmp_gt_u16_e64 s[2:3], 33, v181
	s_and_saveexec_b64 s[4:5], s[2:3]
	s_cbranch_execz .LBB0_9
; %bb.8:
	ds_read_b128 v[64:67], v182 offset:704
	ds_read_b128 v[72:75], v182 offset:1936
	;; [unrolled: 1-line block ×4, first 2 shown]
.LBB0_9:
	s_or_b64 exec, exec, s[4:5]
	v_mad_u64_u32 v[36:37], s[4:5], v181, 48, s[14:15]
	v_add_u32_e32 v38, 44, v181
	global_load_dwordx4 v[48:51], v[36:37], off offset:1088
	global_load_dwordx4 v[52:55], v[36:37], off offset:1072
	;; [unrolled: 1-line block ×3, first 2 shown]
	v_subrev_u32_e32 v36, 33, v181
	v_cndmask_b32_e64 v36, v36, v38, s[2:3]
	v_mul_hi_i32_i24_e32 v37, 48, v36
	v_mul_i32_i24_e32 v36, 48, v36
	v_mov_b32_e32 v38, s15
	v_add_co_u32_e32 v92, vcc, s14, v36
	v_addc_co_u32_e32 v93, vcc, v38, v37, vcc
	global_load_dwordx4 v[44:47], v[92:93], off offset:1056
	global_load_dwordx4 v[40:43], v[92:93], off offset:1072
	;; [unrolled: 1-line block ×3, first 2 shown]
	s_waitcnt vmcnt(5) lgkmcnt(0)
	v_mul_f64 v[101:102], v[82:83], v[50:51]
	s_waitcnt vmcnt(4)
	v_mul_f64 v[97:98], v[86:87], v[54:55]
	s_waitcnt vmcnt(3)
	v_mul_f64 v[92:93], v[90:91], v[58:59]
	v_mul_f64 v[94:95], v[88:89], v[58:59]
	;; [unrolled: 1-line block ×4, first 2 shown]
	v_fma_f64 v[80:81], v[80:81], v[48:49], -v[101:102]
	v_fma_f64 v[84:85], v[84:85], v[52:53], -v[97:98]
	s_waitcnt vmcnt(2)
	v_mul_f64 v[105:106], v[74:75], v[46:47]
	v_mul_f64 v[107:108], v[72:73], v[46:47]
	s_waitcnt vmcnt(1)
	v_mul_f64 v[109:110], v[78:79], v[42:43]
	v_mul_f64 v[111:112], v[76:77], v[42:43]
	;; [unrolled: 3-line block ×3, first 2 shown]
	v_fma_f64 v[88:89], v[88:89], v[56:57], -v[92:93]
	v_fma_f64 v[90:91], v[90:91], v[56:57], v[94:95]
	v_fma_f64 v[86:87], v[86:87], v[52:53], v[99:100]
	;; [unrolled: 1-line block ×3, first 2 shown]
	v_fma_f64 v[72:73], v[72:73], v[44:45], -v[105:106]
	v_fma_f64 v[74:75], v[74:75], v[44:45], v[107:108]
	v_fma_f64 v[76:77], v[76:77], v[40:41], -v[109:110]
	v_fma_f64 v[78:79], v[78:79], v[40:41], v[111:112]
	v_fma_f64 v[60:61], v[60:61], v[36:37], -v[113:114]
	v_fma_f64 v[62:63], v[62:63], v[36:37], v[115:116]
	v_add_f64 v[84:85], v[68:69], -v[84:85]
	v_add_f64 v[86:87], v[70:71], -v[86:87]
	;; [unrolled: 1-line block ×8, first 2 shown]
	v_fma_f64 v[97:98], v[68:69], 2.0, -v[84:85]
	v_fma_f64 v[99:100], v[70:71], 2.0, -v[86:87]
	;; [unrolled: 1-line block ×8, first 2 shown]
	v_add_f64 v[64:65], v[84:85], -v[82:83]
	v_add_f64 v[66:67], v[86:87], v[80:81]
	v_add_f64 v[76:77], v[92:93], -v[62:63]
	v_add_f64 v[78:79], v[94:95], v[60:61]
	v_add_f64 v[68:69], v[97:98], -v[68:69]
	v_add_f64 v[70:71], v[99:100], -v[70:71]
	;; [unrolled: 1-line block ×4, first 2 shown]
	v_fma_f64 v[72:73], v[84:85], 2.0, -v[64:65]
	v_fma_f64 v[74:75], v[86:87], 2.0, -v[66:67]
	;; [unrolled: 1-line block ×8, first 2 shown]
	ds_write_b128 v182, v[72:75] offset:1232
	ds_write_b128 v182, v[68:71] offset:2464
	ds_write_b128 v182, v[60:63]
	ds_write_b128 v182, v[64:67] offset:3696
	s_and_saveexec_b64 s[4:5], s[2:3]
	s_cbranch_execz .LBB0_11
; %bb.10:
	ds_write_b128 v182, v[88:91] offset:704
	ds_write_b128 v182, v[84:87] offset:1936
	;; [unrolled: 1-line block ×4, first 2 shown]
.LBB0_11:
	s_or_b64 exec, exec, s[4:5]
	s_waitcnt lgkmcnt(0)
	; wave barrier
	s_waitcnt lgkmcnt(0)
	s_and_saveexec_b64 s[14:15], s[0:1]
	s_cbranch_execz .LBB0_13
; %bb.12:
	v_mov_b32_e32 v92, s13
	v_add_co_u32_e32 v125, vcc, s12, v182
	v_addc_co_u32_e32 v130, vcc, 0, v92, vcc
	v_add_co_u32_e32 v133, vcc, 0x1340, v125
	v_addc_co_u32_e32 v134, vcc, 0, v130, vcc
	global_load_dwordx4 v[92:95], v[133:134], off offset:448
	s_movk_i32 s4, 0x2000
	v_add_co_u32_e32 v129, vcc, 0x1000, v125
	v_add_co_u32_e64 v125, s[4:5], s4, v125
	global_load_dwordx4 v[97:100], v[133:134], off offset:896
	global_load_dwordx4 v[101:104], v[133:134], off offset:1344
	;; [unrolled: 1-line block ×7, first 2 shown]
	v_addc_co_u32_e64 v126, s[4:5], 0, v130, s[4:5]
	v_addc_co_u32_e32 v130, vcc, 0, v130, vcc
	global_load_dwordx4 v[125:128], v[125:126], off offset:1216
	s_nop 0
	global_load_dwordx4 v[129:132], v[129:130], off offset:832
	s_nop 0
	global_load_dwordx4 v[133:136], v[133:134], off offset:4032
	ds_read_b128 v[137:140], v182
	ds_read_b128 v[141:144], v182 offset:448
	ds_read_b128 v[145:148], v182 offset:896
	;; [unrolled: 1-line block ×10, first 2 shown]
	s_waitcnt vmcnt(9) lgkmcnt(8)
	v_mul_f64 v[188:189], v[147:148], v[99:100]
	v_mul_f64 v[178:179], v[143:144], v[94:95]
	;; [unrolled: 1-line block ×4, first 2 shown]
	s_waitcnt vmcnt(8) lgkmcnt(7)
	v_mul_f64 v[190:191], v[151:152], v[103:104]
	v_mul_f64 v[103:104], v[149:150], v[103:104]
	s_waitcnt vmcnt(7) lgkmcnt(6)
	v_mul_f64 v[192:193], v[155:156], v[107:108]
	v_mul_f64 v[107:108], v[153:154], v[107:108]
	;; [unrolled: 3-line block ×7, first 2 shown]
	s_waitcnt vmcnt(1)
	v_mul_f64 v[204:205], v[139:140], v[131:132]
	v_mul_f64 v[131:132], v[137:138], v[131:132]
	s_waitcnt vmcnt(0)
	v_mul_f64 v[206:207], v[176:177], v[135:136]
	v_mul_f64 v[135:136], v[174:175], v[135:136]
	v_fma_f64 v[141:142], v[141:142], v[92:93], -v[178:179]
	v_fma_f64 v[143:144], v[143:144], v[92:93], v[94:95]
	v_fma_f64 v[92:93], v[145:146], v[97:98], -v[188:189]
	v_fma_f64 v[94:95], v[147:148], v[97:98], v[99:100]
	v_fma_f64 v[97:98], v[149:150], v[101:102], -v[190:191]
	v_fma_f64 v[99:100], v[151:152], v[101:102], v[103:104]
	v_fma_f64 v[101:102], v[153:154], v[105:106], -v[192:193]
	v_fma_f64 v[103:104], v[155:156], v[105:106], v[107:108]
	v_fma_f64 v[105:106], v[158:159], v[109:110], -v[194:195]
	v_fma_f64 v[107:108], v[160:161], v[109:110], v[111:112]
	v_fma_f64 v[109:110], v[162:163], v[113:114], -v[196:197]
	v_fma_f64 v[111:112], v[164:165], v[113:114], v[115:116]
	v_fma_f64 v[113:114], v[166:167], v[117:118], -v[198:199]
	v_fma_f64 v[115:116], v[168:169], v[117:118], v[119:120]
	v_fma_f64 v[117:118], v[170:171], v[121:122], -v[200:201]
	v_fma_f64 v[119:120], v[172:173], v[121:122], v[123:124]
	v_fma_f64 v[121:122], v[184:185], v[125:126], -v[202:203]
	v_fma_f64 v[123:124], v[186:187], v[125:126], v[127:128]
	v_fma_f64 v[125:126], v[137:138], v[129:130], -v[204:205]
	v_fma_f64 v[127:128], v[139:140], v[129:130], v[131:132]
	v_fma_f64 v[129:130], v[174:175], v[133:134], -v[206:207]
	v_fma_f64 v[131:132], v[176:177], v[133:134], v[135:136]
	ds_write_b128 v182, v[141:144] offset:448
	ds_write_b128 v182, v[92:95] offset:896
	;; [unrolled: 1-line block ×8, first 2 shown]
	ds_write_b128 v182, v[125:128]
	ds_write_b128 v182, v[129:132] offset:4032
	ds_write_b128 v182, v[121:124] offset:4480
.LBB0_13:
	s_or_b64 exec, exec, s[14:15]
	s_waitcnt lgkmcnt(0)
	; wave barrier
	s_waitcnt lgkmcnt(0)
	s_and_saveexec_b64 s[4:5], s[0:1]
	s_cbranch_execz .LBB0_15
; %bb.14:
	ds_read_b128 v[60:63], v182
	ds_read_b128 v[72:75], v182 offset:448
	ds_read_b128 v[68:71], v182 offset:896
	;; [unrolled: 1-line block ×10, first 2 shown]
.LBB0_15:
	s_or_b64 exec, exec, s[4:5]
	s_waitcnt lgkmcnt(0)
	v_add_f64 v[99:100], v[10:11], v[74:75]
	s_mov_b32 s4, 0x7f775887
	s_mov_b32 s5, 0xbfe4f49e
	v_add_f64 v[101:102], v[74:75], -v[10:11]
	v_add_f64 v[131:132], v[72:73], -v[8:9]
	v_add_f64 v[105:106], v[6:7], v[70:71]
	s_mov_b32 s14, 0xbb3a28a1
	s_mov_b32 s18, 0x640f44db
	v_mul_f64 v[141:142], v[99:100], s[4:5]
	s_mov_b32 s15, 0xbfe82f19
	s_mov_b32 s19, 0xbfc2375f
	v_add_f64 v[97:98], v[8:9], v[72:73]
	v_mul_f64 v[137:138], v[101:102], s[14:15]
	v_add_f64 v[107:108], v[70:71], -v[6:7]
	v_add_f64 v[117:118], v[68:69], -v[4:5]
	v_mul_f64 v[149:150], v[105:106], s[18:19]
	v_fma_f64 v[94:95], v[131:132], s[14:15], v[141:142]
	v_add_f64 v[111:112], v[66:67], v[2:3]
	s_mov_b32 s34, 0x43842ef
	s_mov_b32 s22, 0x8764f0ba
	;; [unrolled: 1-line block ×4, first 2 shown]
	v_add_f64 v[103:104], v[4:5], v[68:69]
	v_fma_f64 v[92:93], v[97:98], s[4:5], -v[137:138]
	v_mul_f64 v[139:140], v[107:108], s[34:35]
	v_add_f64 v[94:95], v[62:63], v[94:95]
	v_fma_f64 v[119:120], v[117:118], s[34:35], v[149:150]
	v_add_f64 v[113:114], v[66:67], -v[2:3]
	v_add_f64 v[125:126], v[64:65], -v[0:1]
	v_mul_f64 v[151:152], v[111:112], s[22:23]
	s_mov_b32 s24, 0xf8bb580b
	s_mov_b32 s25, 0xbfe14ced
	v_fma_f64 v[115:116], v[103:104], s[18:19], -v[139:140]
	v_add_f64 v[92:93], v[60:61], v[92:93]
	v_add_f64 v[109:110], v[64:65], v[0:1]
	v_mul_f64 v[143:144], v[113:114], s[24:25]
	v_add_f64 v[94:95], v[119:120], v[94:95]
	v_fma_f64 v[123:124], v[125:126], s[24:25], v[151:152]
	v_add_f64 v[127:128], v[90:91], -v[78:79]
	v_add_f64 v[119:120], v[90:91], v[78:79]
	s_mov_b32 s20, 0x9bcd5057
	s_mov_b32 s26, 0xfd768dbf
	s_mov_b32 s21, 0xbfeeb42a
	s_mov_b32 s27, 0xbfd207e7
	v_add_f64 v[92:93], v[115:116], v[92:93]
	v_fma_f64 v[121:122], v[109:110], s[22:23], -v[143:144]
	v_add_f64 v[115:116], v[88:89], v[76:77]
	v_add_f64 v[129:130], v[88:89], -v[76:77]
	v_mul_f64 v[145:146], v[127:128], s[26:27]
	v_mul_f64 v[153:154], v[119:120], s[20:21]
	v_add_f64 v[94:95], v[123:124], v[94:95]
	v_add_f64 v[133:134], v[86:87], -v[82:83]
	v_add_f64 v[123:124], v[82:83], v[86:87]
	s_mov_b32 s28, 0xd9c712b6
	s_mov_b32 s29, 0x3fda9628
	s_mov_b32 s31, 0x3fed1bb4
	s_mov_b32 s30, 0x8eee2c13
	v_add_f64 v[92:93], v[121:122], v[92:93]
	v_fma_f64 v[158:159], v[115:116], s[20:21], -v[145:146]
	v_fma_f64 v[160:161], v[129:130], s[26:27], v[153:154]
	v_add_f64 v[121:122], v[80:81], v[84:85]
	v_add_f64 v[135:136], v[84:85], -v[80:81]
	v_mul_f64 v[147:148], v[133:134], s[30:31]
	v_mul_f64 v[155:156], v[123:124], s[28:29]
	s_waitcnt lgkmcnt(0)
	; wave barrier
	v_add_f64 v[92:93], v[158:159], v[92:93]
	v_add_f64 v[94:95], v[160:161], v[94:95]
	v_fma_f64 v[158:159], v[121:122], s[28:29], -v[147:148]
	v_fma_f64 v[160:161], v[135:136], s[30:31], v[155:156]
	v_add_f64 v[92:93], v[158:159], v[92:93]
	v_add_f64 v[94:95], v[160:161], v[94:95]
	s_and_saveexec_b64 s[16:17], s[0:1]
	s_cbranch_execz .LBB0_17
; %bb.16:
	v_mul_f64 v[158:159], v[131:132], s[26:27]
	s_mov_b32 s39, 0x3fe14ced
	s_mov_b32 s38, s24
	v_mul_f64 v[168:169], v[117:118], s[38:39]
	v_mul_f64 v[186:187], v[125:126], s[14:15]
	v_mul_f64 v[192:193], v[101:102], s[26:27]
	v_mul_f64 v[162:163], v[131:132], s[14:15]
	v_mul_f64 v[166:167], v[117:118], s[34:35]
	v_fma_f64 v[170:171], v[99:100], s[20:21], v[158:159]
	v_fma_f64 v[158:159], v[99:100], s[20:21], -v[158:159]
	v_mul_f64 v[202:203], v[113:114], s[14:15]
	v_fma_f64 v[188:189], v[105:106], s[22:23], v[168:169]
	v_fma_f64 v[198:199], v[111:112], s[4:5], v[186:187]
	v_fma_f64 v[200:201], v[97:98], s[20:21], -v[192:193]
	v_fma_f64 v[192:193], v[97:98], s[20:21], v[192:193]
	v_fma_f64 v[168:169], v[105:106], s[22:23], -v[168:169]
	v_add_f64 v[170:171], v[62:63], v[170:171]
	v_add_f64 v[158:159], v[62:63], v[158:159]
	v_add_f64 v[141:142], v[141:142], -v[162:163]
	v_mul_f64 v[160:161], v[97:98], s[4:5]
	v_mul_f64 v[174:175], v[125:126], s[24:25]
	v_mul_f64 v[194:195], v[129:130], s[30:31]
	v_add_f64 v[192:193], v[60:61], v[192:193]
	v_mul_f64 v[196:197], v[127:128], s[30:31]
	v_add_f64 v[170:171], v[188:189], v[170:171]
	v_mul_f64 v[188:189], v[107:108], s[38:39]
	v_add_f64 v[200:201], v[60:61], v[200:201]
	v_fma_f64 v[186:187], v[111:112], s[4:5], -v[186:187]
	v_add_f64 v[158:159], v[168:169], v[158:159]
	v_fma_f64 v[162:163], v[109:110], s[4:5], v[202:203]
	v_add_f64 v[149:150], v[149:150], -v[166:167]
	v_add_f64 v[141:142], v[62:63], v[141:142]
	v_add_f64 v[170:171], v[198:199], v[170:171]
	v_fma_f64 v[198:199], v[103:104], s[22:23], -v[188:189]
	v_fma_f64 v[188:189], v[103:104], s[22:23], v[188:189]
	s_mov_b32 s37, 0xbfefac9e
	s_mov_b32 s36, s34
	v_mul_f64 v[164:165], v[103:104], s[18:19]
	v_mul_f64 v[178:179], v[129:130], s[26:27]
	;; [unrolled: 1-line block ×3, first 2 shown]
	v_fma_f64 v[206:207], v[119:120], s[28:29], v[194:195]
	v_add_f64 v[198:199], v[198:199], v[200:201]
	v_add_f64 v[168:169], v[188:189], v[192:193]
	v_mul_f64 v[200:201], v[133:134], s[36:37]
	v_fma_f64 v[194:195], v[119:120], s[28:29], -v[194:195]
	v_add_f64 v[158:159], v[186:187], v[158:159]
	v_fma_f64 v[166:167], v[115:116], s[28:29], v[196:197]
	v_add_f64 v[151:152], v[151:152], -v[174:175]
	v_add_f64 v[137:138], v[160:161], v[137:138]
	v_add_f64 v[149:150], v[149:150], v[141:142]
	;; [unrolled: 1-line block ×3, first 2 shown]
	v_mul_f64 v[172:173], v[109:110], s[22:23]
	v_mul_f64 v[190:191], v[135:136], s[30:31]
	v_fma_f64 v[208:209], v[109:110], s[4:5], -v[202:203]
	v_fma_f64 v[186:187], v[123:124], s[18:19], -v[204:205]
	v_add_f64 v[158:159], v[194:195], v[158:159]
	v_fma_f64 v[160:161], v[121:122], s[18:19], v[200:201]
	v_add_f64 v[153:154], v[153:154], -v[178:179]
	v_add_f64 v[162:163], v[166:167], v[162:163]
	v_add_f64 v[164:165], v[164:165], v[139:140]
	;; [unrolled: 1-line block ×4, first 2 shown]
	v_mul_f64 v[176:177], v[115:116], s[20:21]
	v_mul_f64 v[184:185], v[121:122], s[28:29]
	v_add_f64 v[170:171], v[206:207], v[170:171]
	v_fma_f64 v[206:207], v[115:116], s[28:29], -v[196:197]
	v_add_f64 v[188:189], v[208:209], v[198:199]
	v_add_f64 v[151:152], v[186:187], v[158:159]
	;; [unrolled: 1-line block ×3, first 2 shown]
	v_add_f64 v[155:156], v[155:156], -v[190:191]
	v_add_f64 v[143:144], v[172:173], v[143:144]
	v_mul_f64 v[158:159], v[131:132], s[36:37]
	v_add_f64 v[137:138], v[164:165], v[137:138]
	v_add_f64 v[153:154], v[153:154], v[166:167]
	v_mul_f64 v[162:163], v[101:102], s[36:37]
	s_mov_b32 s41, 0x3fd207e7
	s_mov_b32 s40, s26
	v_fma_f64 v[210:211], v[123:124], s[18:19], v[204:205]
	v_fma_f64 v[192:193], v[121:122], s[18:19], -v[200:201]
	v_add_f64 v[168:169], v[206:207], v[188:189]
	v_add_f64 v[160:161], v[176:177], v[145:146]
	v_mul_f64 v[164:165], v[117:118], s[40:41]
	v_fma_f64 v[166:167], v[99:100], s[18:19], v[158:159]
	v_add_f64 v[137:138], v[143:144], v[137:138]
	v_add_f64 v[145:146], v[155:156], v[153:154]
	v_add_f64 v[143:144], v[184:185], v[147:148]
	v_mul_f64 v[147:148], v[107:108], s[40:41]
	v_fma_f64 v[153:154], v[97:98], s[18:19], -v[162:163]
	v_add_f64 v[141:142], v[210:211], v[170:171]
	v_add_f64 v[139:140], v[192:193], v[168:169]
	v_mul_f64 v[155:156], v[125:126], s[30:31]
	v_fma_f64 v[168:169], v[105:106], s[20:21], v[164:165]
	v_add_f64 v[166:167], v[62:63], v[166:167]
	v_add_f64 v[137:138], v[160:161], v[137:138]
	v_mul_f64 v[160:161], v[113:114], s[30:31]
	v_fma_f64 v[158:159], v[99:100], s[18:19], -v[158:159]
	v_fma_f64 v[170:171], v[103:104], s[20:21], -v[147:148]
	v_add_f64 v[153:154], v[60:61], v[153:154]
	v_fma_f64 v[174:175], v[111:112], s[28:29], v[155:156]
	v_fma_f64 v[164:165], v[105:106], s[20:21], -v[164:165]
	v_add_f64 v[166:167], v[168:169], v[166:167]
	v_mul_f64 v[168:169], v[127:128], s[24:25]
	v_fma_f64 v[176:177], v[109:110], s[28:29], -v[160:161]
	v_add_f64 v[158:159], v[62:63], v[158:159]
	v_mul_f64 v[172:173], v[129:130], s[24:25]
	v_add_f64 v[153:154], v[170:171], v[153:154]
	v_fma_f64 v[155:156], v[111:112], s[28:29], -v[155:156]
	v_fma_f64 v[162:163], v[97:98], s[18:19], v[162:163]
	v_add_f64 v[166:167], v[174:175], v[166:167]
	v_mul_f64 v[174:175], v[133:134], s[14:15]
	v_mul_f64 v[170:171], v[135:136], s[14:15]
	v_add_f64 v[158:159], v[164:165], v[158:159]
	v_fma_f64 v[164:165], v[115:116], s[22:23], -v[168:169]
	v_add_f64 v[153:154], v[176:177], v[153:154]
	v_fma_f64 v[178:179], v[119:120], s[22:23], v[172:173]
	v_fma_f64 v[147:148], v[103:104], s[20:21], v[147:148]
	v_add_f64 v[162:163], v[60:61], v[162:163]
	v_add_f64 v[143:144], v[143:144], v[137:138]
	v_fma_f64 v[137:138], v[123:124], s[4:5], v[170:171]
	v_add_f64 v[155:156], v[155:156], v[158:159]
	v_fma_f64 v[158:159], v[121:122], s[4:5], -v[174:175]
	v_add_f64 v[153:154], v[164:165], v[153:154]
	v_add_f64 v[166:167], v[178:179], v[166:167]
	v_fma_f64 v[172:173], v[119:120], s[22:23], -v[172:173]
	v_add_f64 v[147:148], v[147:148], v[162:163]
	s_mov_b32 s31, 0xbfed1bb4
	v_add_f64 v[74:75], v[62:63], v[74:75]
	v_add_f64 v[72:73], v[60:61], v[72:73]
	v_fma_f64 v[164:165], v[123:124], s[4:5], -v[170:171]
	v_add_f64 v[153:154], v[158:159], v[153:154]
	v_fma_f64 v[158:159], v[109:110], s[28:29], v[160:161]
	v_mul_f64 v[170:171], v[131:132], s[30:31]
	v_add_f64 v[172:173], v[172:173], v[155:156]
	v_add_f64 v[155:156], v[137:138], v[166:167]
	v_mul_f64 v[137:138], v[101:102], s[30:31]
	v_fma_f64 v[162:163], v[115:116], s[22:23], v[168:169]
	v_add_f64 v[70:71], v[70:71], v[74:75]
	v_add_f64 v[72:73], v[68:69], v[72:73]
	;; [unrolled: 1-line block ×3, first 2 shown]
	v_mul_f64 v[166:167], v[117:118], s[14:15]
	v_add_f64 v[160:161], v[164:165], v[172:173]
	v_mul_f64 v[164:165], v[107:108], s[14:15]
	v_fma_f64 v[168:169], v[97:98], s[28:29], -v[137:138]
	v_mul_f64 v[172:173], v[125:126], s[40:41]
	v_add_f64 v[66:67], v[66:67], v[70:71]
	v_add_f64 v[64:65], v[64:65], v[72:73]
	;; [unrolled: 1-line block ×3, first 2 shown]
	v_fma_f64 v[162:163], v[99:100], s[28:29], -v[170:171]
	v_fma_f64 v[178:179], v[105:106], s[4:5], v[166:167]
	v_fma_f64 v[184:185], v[103:104], s[4:5], -v[164:165]
	v_add_f64 v[168:169], v[60:61], v[168:169]
	v_fma_f64 v[166:167], v[105:106], s[4:5], -v[166:167]
	v_fma_f64 v[176:177], v[99:100], s[28:29], v[170:171]
	v_add_f64 v[66:67], v[90:91], v[66:67]
	v_add_f64 v[64:65], v[88:89], v[64:65]
	;; [unrolled: 1-line block ×3, first 2 shown]
	v_fma_f64 v[158:159], v[121:122], s[4:5], v[174:175]
	v_fma_f64 v[188:189], v[111:112], s[20:21], v[172:173]
	v_add_f64 v[168:169], v[184:185], v[168:169]
	v_mul_f64 v[184:185], v[135:136], s[38:39]
	v_fma_f64 v[172:173], v[111:112], s[20:21], -v[172:173]
	v_fma_f64 v[137:138], v[97:98], s[28:29], v[137:138]
	v_mul_f64 v[131:132], v[131:132], s[24:25]
	v_add_f64 v[162:163], v[166:167], v[162:163]
	v_mul_f64 v[88:89], v[101:102], s[24:25]
	v_add_f64 v[176:177], v[62:63], v[176:177]
	;; [unrolled: 2-line block ×3, first 2 shown]
	v_add_f64 v[64:65], v[84:85], v[64:65]
	v_add_f64 v[158:159], v[158:159], v[147:148]
	v_fma_f64 v[147:148], v[123:124], s[22:23], v[184:185]
	v_fma_f64 v[164:165], v[103:104], s[4:5], v[164:165]
	v_add_f64 v[137:138], v[60:61], v[137:138]
	v_add_f64 v[162:163], v[172:173], v[162:163]
	v_fma_f64 v[172:173], v[123:124], s[22:23], -v[184:185]
	v_mul_f64 v[117:118], v[117:118], s[30:31]
	v_fma_f64 v[184:185], v[99:100], s[22:23], v[131:132]
	v_fma_f64 v[99:100], v[99:100], s[22:23], -v[131:132]
	v_mul_f64 v[101:102], v[107:108], s[30:31]
	v_fma_f64 v[84:85], v[97:98], s[22:23], v[88:89]
	v_mul_f64 v[186:187], v[129:130], s[34:35]
	v_add_f64 v[176:177], v[178:179], v[176:177]
	v_fma_f64 v[178:179], v[109:110], s[20:21], -v[174:175]
	v_fma_f64 v[88:89], v[97:98], s[22:23], -v[88:89]
	v_add_f64 v[66:67], v[82:83], v[66:67]
	v_add_f64 v[64:65], v[80:81], v[64:65]
	;; [unrolled: 1-line block ×3, first 2 shown]
	v_mul_f64 v[125:126], v[125:126], s[36:37]
	v_fma_f64 v[74:75], v[105:106], s[28:29], v[117:118]
	v_add_f64 v[164:165], v[62:63], v[184:185]
	v_mul_f64 v[86:87], v[113:114], s[36:37]
	v_fma_f64 v[97:98], v[105:106], s[28:29], -v[117:118]
	v_add_f64 v[62:63], v[62:63], v[99:100]
	v_fma_f64 v[99:100], v[103:104], s[28:29], v[101:102]
	v_add_f64 v[80:81], v[60:61], v[84:85]
	v_add_f64 v[168:169], v[178:179], v[168:169]
	v_fma_f64 v[178:179], v[119:120], s[18:19], -v[186:187]
	v_fma_f64 v[82:83], v[103:104], s[28:29], -v[101:102]
	v_add_f64 v[60:61], v[60:61], v[88:89]
	v_add_f64 v[66:67], v[78:79], v[66:67]
	;; [unrolled: 1-line block ×3, first 2 shown]
	v_mul_f64 v[129:130], v[129:130], s[14:15]
	v_fma_f64 v[70:71], v[111:112], s[18:19], v[125:126]
	v_add_f64 v[72:73], v[74:75], v[164:165]
	v_mul_f64 v[90:91], v[127:128], s[14:15]
	v_fma_f64 v[84:85], v[111:112], s[18:19], -v[125:126]
	v_add_f64 v[62:63], v[97:98], v[62:63]
	v_fma_f64 v[88:89], v[109:110], s[18:19], v[86:87]
	v_add_f64 v[76:77], v[99:100], v[80:81]
	v_mul_f64 v[170:171], v[127:128], s[34:35]
	v_fma_f64 v[174:175], v[109:110], s[20:21], v[174:175]
	v_add_f64 v[162:163], v[178:179], v[162:163]
	v_fma_f64 v[78:79], v[109:110], s[18:19], -v[86:87]
	v_add_f64 v[60:61], v[82:83], v[60:61]
	v_add_f64 v[2:3], v[2:3], v[66:67]
	;; [unrolled: 1-line block ×3, first 2 shown]
	v_mul_f64 v[135:136], v[135:136], s[26:27]
	v_add_f64 v[70:71], v[70:71], v[72:73]
	v_mul_f64 v[72:73], v[133:134], s[26:27]
	v_fma_f64 v[80:81], v[119:120], s[4:5], -v[129:130]
	v_add_f64 v[62:63], v[84:85], v[62:63]
	v_fma_f64 v[82:83], v[115:116], s[4:5], v[90:91]
	v_add_f64 v[64:65], v[88:89], v[76:77]
	v_add_f64 v[176:177], v[188:189], v[176:177]
	v_mul_f64 v[188:189], v[133:134], s[38:39]
	v_fma_f64 v[192:193], v[115:116], s[18:19], -v[170:171]
	v_fma_f64 v[170:171], v[115:116], s[18:19], v[170:171]
	v_add_f64 v[137:138], v[174:175], v[137:138]
	v_fma_f64 v[190:191], v[119:120], s[18:19], v[186:187]
	v_add_f64 v[68:69], v[172:173], v[162:163]
	v_fma_f64 v[162:163], v[119:120], s[4:5], v[129:130]
	v_fma_f64 v[66:67], v[115:116], s[4:5], -v[90:91]
	v_add_f64 v[60:61], v[78:79], v[60:61]
	v_add_f64 v[6:7], v[6:7], v[2:3]
	v_add_f64 v[0:1], v[4:5], v[0:1]
	v_fma_f64 v[76:77], v[123:124], s[20:21], -v[135:136]
	v_add_f64 v[62:63], v[80:81], v[62:63]
	v_fma_f64 v[78:79], v[121:122], s[20:21], v[72:73]
	v_add_f64 v[64:65], v[82:83], v[64:65]
	v_fma_f64 v[74:75], v[121:122], s[22:23], v[188:189]
	v_add_f64 v[137:138], v[170:171], v[137:138]
	v_add_f64 v[166:167], v[190:191], v[176:177]
	v_fma_f64 v[176:177], v[121:122], s[22:23], -v[188:189]
	v_add_f64 v[168:169], v[192:193], v[168:169]
	v_fma_f64 v[80:81], v[123:124], s[20:21], v[135:136]
	v_add_f64 v[70:71], v[162:163], v[70:71]
	v_fma_f64 v[72:73], v[121:122], s[20:21], -v[72:73]
	v_add_f64 v[60:61], v[66:67], v[60:61]
	v_add_f64 v[6:7], v[10:11], v[6:7]
	;; [unrolled: 1-line block ×6, first 2 shown]
	v_lshlrev_b32_e32 v64, 4, v183
	v_add_f64 v[10:11], v[147:148], v[166:167]
	v_add_f64 v[8:9], v[176:177], v[168:169]
	;; [unrolled: 1-line block ×4, first 2 shown]
	ds_write_b128 v64, v[4:7]
	ds_write_b128 v64, v[0:3] offset:16
	ds_write_b128 v64, v[66:69] offset:32
	;; [unrolled: 1-line block ×10, first 2 shown]
.LBB0_17:
	s_or_b64 exec, exec, s[16:17]
	s_waitcnt lgkmcnt(0)
	; wave barrier
	s_waitcnt lgkmcnt(0)
	ds_read_b128 v[0:3], v182 offset:704
	ds_read_b128 v[4:7], v182 offset:1408
	;; [unrolled: 1-line block ×3, first 2 shown]
	ds_read_b128 v[60:63], v182
	ds_read_b128 v[64:67], v182 offset:2816
	ds_read_b128 v[68:71], v182 offset:3520
	;; [unrolled: 1-line block ×3, first 2 shown]
	s_mov_b32 s4, 0x37e14327
	s_waitcnt lgkmcnt(6)
	v_mul_f64 v[76:77], v[26:27], v[2:3]
	v_mul_f64 v[26:27], v[26:27], v[0:1]
	s_waitcnt lgkmcnt(5)
	v_mul_f64 v[78:79], v[22:23], v[6:7]
	v_mul_f64 v[22:23], v[22:23], v[4:5]
	s_mov_b32 s5, 0x3fe948f6
	s_mov_b32 s14, 0xe976ee23
	s_mov_b32 s15, 0x3fe11646
	s_mov_b32 s16, 0xaaaaaaaa
	v_fma_f64 v[0:1], v[24:25], v[0:1], v[76:77]
	v_fma_f64 v[2:3], v[24:25], v[2:3], -v[26:27]
	v_fma_f64 v[4:5], v[20:21], v[4:5], v[78:79]
	v_fma_f64 v[6:7], v[20:21], v[6:7], -v[22:23]
	s_waitcnt lgkmcnt(0)
	v_mul_f64 v[20:21], v[30:31], v[74:75]
	v_mul_f64 v[22:23], v[30:31], v[72:73]
	;; [unrolled: 1-line block ×8, first 2 shown]
	v_fma_f64 v[20:21], v[28:29], v[72:73], v[20:21]
	v_fma_f64 v[22:23], v[28:29], v[74:75], -v[22:23]
	v_fma_f64 v[8:9], v[16:17], v[8:9], v[24:25]
	v_fma_f64 v[10:11], v[16:17], v[10:11], -v[18:19]
	;; [unrolled: 2-line block ×4, first 2 shown]
	v_add_f64 v[14:15], v[0:1], v[20:21]
	v_add_f64 v[26:27], v[2:3], v[22:23]
	v_add_f64 v[0:1], v[0:1], -v[20:21]
	v_add_f64 v[2:3], v[2:3], -v[22:23]
	v_add_f64 v[20:21], v[4:5], v[16:17]
	v_add_f64 v[22:23], v[6:7], v[18:19]
	v_add_f64 v[4:5], v[4:5], -v[16:17]
	v_add_f64 v[6:7], v[6:7], -v[18:19]
	;; [unrolled: 4-line block ×4, first 2 shown]
	v_add_f64 v[32:33], v[14:15], -v[16:17]
	v_add_f64 v[26:27], v[26:27], -v[18:19]
	;; [unrolled: 1-line block ×4, first 2 shown]
	v_add_f64 v[34:35], v[10:11], v[6:7]
	v_add_f64 v[14:15], v[8:9], v[4:5]
	v_add_f64 v[64:65], v[8:9], -v[4:5]
	v_add_f64 v[66:67], v[10:11], -v[6:7]
	v_add_f64 v[16:17], v[16:17], v[12:13]
	v_add_f64 v[18:19], v[18:19], v[24:25]
	v_add_f64 v[4:5], v[4:5], -v[0:1]
	v_add_f64 v[6:7], v[6:7], -v[2:3]
	v_mul_f64 v[24:25], v[32:33], s[4:5]
	v_mul_f64 v[26:27], v[26:27], s[4:5]
	s_mov_b32 s4, 0x36b3c0b5
	s_mov_b32 s5, 0x3fac98ee
	v_add_f64 v[10:11], v[2:3], -v[10:11]
	v_add_f64 v[2:3], v[34:35], v[2:3]
	v_mul_f64 v[32:33], v[20:21], s[4:5]
	v_mul_f64 v[34:35], v[22:23], s[4:5]
	v_add_f64 v[8:9], v[0:1], -v[8:9]
	v_add_f64 v[0:1], v[14:15], v[0:1]
	v_add_f64 v[12:13], v[60:61], v[16:17]
	v_add_f64 v[14:15], v[62:63], v[18:19]
	v_mul_f64 v[60:61], v[64:65], s[14:15]
	v_mul_f64 v[62:63], v[66:67], s[14:15]
	s_mov_b32 s14, 0x429ad128
	s_mov_b32 s15, 0xbfebfeb5
	v_mul_f64 v[64:65], v[4:5], s[14:15]
	v_mul_f64 v[66:67], v[6:7], s[14:15]
	v_fma_f64 v[20:21], v[20:21], s[4:5], v[24:25]
	v_fma_f64 v[22:23], v[22:23], s[4:5], v[26:27]
	s_mov_b32 s5, 0x3fe77f67
	s_mov_b32 s4, 0x5476071b
	v_fma_f64 v[32:33], v[28:29], s[4:5], -v[32:33]
	v_fma_f64 v[34:35], v[30:31], s[4:5], -v[34:35]
	s_mov_b32 s5, 0xbfe77f67
	s_mov_b32 s17, 0xbff2aaaa
	v_fma_f64 v[24:25], v[28:29], s[4:5], -v[24:25]
	v_fma_f64 v[26:27], v[30:31], s[4:5], -v[26:27]
	s_mov_b32 s5, 0xbfd5d0dc
	s_mov_b32 s4, 0xb247c609
	v_fma_f64 v[16:17], v[16:17], s[16:17], v[12:13]
	v_fma_f64 v[18:19], v[18:19], s[16:17], v[14:15]
	v_fma_f64 v[28:29], v[8:9], s[4:5], v[60:61]
	v_fma_f64 v[30:31], v[10:11], s[4:5], v[62:63]
	s_mov_b32 s5, 0x3fd5d0dc
	v_fma_f64 v[8:9], v[8:9], s[4:5], -v[64:65]
	v_fma_f64 v[10:11], v[10:11], s[4:5], -v[66:67]
	;; [unrolled: 1-line block ×4, first 2 shown]
	s_mov_b32 s4, 0x37c3f68c
	s_mov_b32 s5, 0xbfdc38aa
	v_add_f64 v[60:61], v[20:21], v[16:17]
	v_add_f64 v[62:63], v[22:23], v[18:19]
	v_fma_f64 v[30:31], v[2:3], s[4:5], v[30:31]
	v_fma_f64 v[28:29], v[0:1], s[4:5], v[28:29]
	v_add_f64 v[64:65], v[24:25], v[16:17]
	v_add_f64 v[66:67], v[26:27], v[18:19]
	v_fma_f64 v[10:11], v[2:3], s[4:5], v[10:11]
	v_fma_f64 v[8:9], v[0:1], s[4:5], v[8:9]
	;; [unrolled: 4-line block ×3, first 2 shown]
	v_add_f64 v[16:17], v[30:31], v[60:61]
	v_add_f64 v[18:19], v[62:63], -v[28:29]
	v_add_f64 v[20:21], v[10:11], v[64:65]
	v_add_f64 v[22:23], v[66:67], -v[8:9]
	;; [unrolled: 2-line block ×3, first 2 shown]
	v_add_f64 v[24:25], v[32:33], -v[2:3]
	v_add_f64 v[26:27], v[4:5], v[34:35]
	v_add_f64 v[0:1], v[2:3], v[32:33]
	v_add_f64 v[2:3], v[34:35], -v[4:5]
	v_add_f64 v[4:5], v[64:65], -v[10:11]
	v_add_f64 v[10:11], v[28:29], v[62:63]
	s_waitcnt lgkmcnt(0)
	; wave barrier
	ds_write_b128 v157, v[12:15]
	ds_write_b128 v157, v[16:19] offset:176
	ds_write_b128 v157, v[20:23] offset:352
	;; [unrolled: 1-line block ×6, first 2 shown]
	s_waitcnt lgkmcnt(0)
	; wave barrier
	s_waitcnt lgkmcnt(0)
	ds_read_b128 v[12:15], v182
	ds_read_b128 v[24:27], v182 offset:1232
	ds_read_b128 v[20:23], v182 offset:2464
	;; [unrolled: 1-line block ×3, first 2 shown]
	s_and_saveexec_b64 s[4:5], s[2:3]
	s_cbranch_execz .LBB0_19
; %bb.18:
	ds_read_b128 v[0:3], v182 offset:704
	ds_read_b128 v[4:7], v182 offset:1936
	;; [unrolled: 1-line block ×4, first 2 shown]
.LBB0_19:
	s_or_b64 exec, exec, s[4:5]
	s_waitcnt lgkmcnt(2)
	v_mul_f64 v[28:29], v[58:59], v[26:27]
	v_mul_f64 v[30:31], v[58:59], v[24:25]
	s_waitcnt lgkmcnt(1)
	v_mul_f64 v[32:33], v[54:55], v[22:23]
	v_mul_f64 v[34:35], v[54:55], v[20:21]
	;; [unrolled: 3-line block ×3, first 2 shown]
	v_fma_f64 v[24:25], v[56:57], v[24:25], v[28:29]
	v_fma_f64 v[26:27], v[56:57], v[26:27], -v[30:31]
	v_fma_f64 v[20:21], v[52:53], v[20:21], v[32:33]
	v_fma_f64 v[22:23], v[52:53], v[22:23], -v[34:35]
	;; [unrolled: 2-line block ×3, first 2 shown]
	v_add_f64 v[20:21], v[12:13], -v[20:21]
	v_add_f64 v[22:23], v[14:15], -v[22:23]
	;; [unrolled: 1-line block ×4, first 2 shown]
	v_fma_f64 v[28:29], v[12:13], 2.0, -v[20:21]
	v_fma_f64 v[30:31], v[14:15], 2.0, -v[22:23]
	;; [unrolled: 1-line block ×4, first 2 shown]
	v_add_f64 v[12:13], v[20:21], v[18:19]
	v_add_f64 v[14:15], v[22:23], -v[16:17]
	v_add_f64 v[16:17], v[28:29], -v[24:25]
	;; [unrolled: 1-line block ×3, first 2 shown]
	v_fma_f64 v[20:21], v[20:21], 2.0, -v[12:13]
	v_fma_f64 v[22:23], v[22:23], 2.0, -v[14:15]
	;; [unrolled: 1-line block ×4, first 2 shown]
	ds_write_b128 v182, v[20:23] offset:1232
	ds_write_b128 v182, v[16:19] offset:2464
	ds_write_b128 v182, v[24:27]
	ds_write_b128 v182, v[12:15] offset:3696
	s_and_saveexec_b64 s[4:5], s[2:3]
	s_cbranch_execz .LBB0_21
; %bb.20:
	v_mul_f64 v[12:13], v[42:43], v[8:9]
	v_mul_f64 v[14:15], v[46:47], v[6:7]
	v_mul_f64 v[16:17], v[46:47], v[4:5]
	v_mul_f64 v[18:19], v[38:39], v[92:93]
	v_mul_f64 v[20:21], v[42:43], v[10:11]
	v_mul_f64 v[22:23], v[38:39], v[94:95]
	v_fma_f64 v[10:11], v[40:41], v[10:11], -v[12:13]
	v_fma_f64 v[4:5], v[44:45], v[4:5], v[14:15]
	v_fma_f64 v[6:7], v[44:45], v[6:7], -v[16:17]
	v_fma_f64 v[12:13], v[36:37], v[94:95], -v[18:19]
	v_fma_f64 v[8:9], v[40:41], v[8:9], v[20:21]
	v_fma_f64 v[14:15], v[36:37], v[92:93], v[22:23]
	v_add_f64 v[10:11], v[2:3], -v[10:11]
	v_add_f64 v[12:13], v[6:7], -v[12:13]
	;; [unrolled: 1-line block ×4, first 2 shown]
	v_fma_f64 v[16:17], v[2:3], 2.0, -v[10:11]
	v_fma_f64 v[6:7], v[6:7], 2.0, -v[12:13]
	;; [unrolled: 1-line block ×4, first 2 shown]
	v_add_f64 v[2:3], v[10:11], -v[14:15]
	v_add_f64 v[0:1], v[8:9], v[12:13]
	v_add_f64 v[6:7], v[16:17], -v[6:7]
	v_add_f64 v[4:5], v[18:19], -v[4:5]
	v_fma_f64 v[10:11], v[10:11], 2.0, -v[2:3]
	v_fma_f64 v[8:9], v[8:9], 2.0, -v[0:1]
	v_fma_f64 v[14:15], v[16:17], 2.0, -v[6:7]
	v_fma_f64 v[12:13], v[18:19], 2.0, -v[4:5]
	ds_write_b128 v182, v[8:11] offset:1936
	ds_write_b128 v182, v[4:7] offset:3168
	;; [unrolled: 1-line block ×4, first 2 shown]
.LBB0_21:
	s_or_b64 exec, exec, s[4:5]
	s_waitcnt lgkmcnt(0)
	; wave barrier
	s_waitcnt lgkmcnt(0)
	s_and_b64 exec, exec, s[0:1]
	s_cbranch_execz .LBB0_23
; %bb.22:
	global_load_dwordx4 v[0:3], v182, s[12:13]
	global_load_dwordx4 v[4:7], v182, s[12:13] offset:448
	global_load_dwordx4 v[8:11], v182, s[12:13] offset:896
	;; [unrolled: 1-line block ×4, first 2 shown]
	ds_read_b128 v[20:23], v182
	ds_read_b128 v[24:27], v182 offset:448
	ds_read_b128 v[28:31], v182 offset:896
	;; [unrolled: 1-line block ×3, first 2 shown]
	global_load_dwordx4 v[36:39], v182, s[12:13] offset:2240
	ds_read_b128 v[40:43], v182 offset:1792
	ds_read_b128 v[44:47], v182 offset:2240
	global_load_dwordx4 v[48:51], v182, s[12:13] offset:2688
	global_load_dwordx4 v[52:55], v182, s[12:13] offset:3136
	;; [unrolled: 1-line block ×4, first 2 shown]
	v_mad_u64_u32 v[72:73], s[0:1], s10, v96, 0
	v_mad_u64_u32 v[74:75], s[2:3], s8, v181, 0
	v_mov_b32_e32 v68, s13
	v_add_co_u32_e32 v70, vcc, s12, v182
	s_mul_i32 s3, s9, 0x1c0
	s_mul_hi_u32 s4, s8, 0x1c0
	v_addc_co_u32_e32 v71, vcc, 0, v68, vcc
	v_mov_b32_e32 v68, v73
	v_mov_b32_e32 v69, v75
	s_add_i32 s3, s4, s3
	v_mad_u64_u32 v[75:76], s[4:5], s11, v96, v[68:69]
	v_mad_u64_u32 v[76:77], s[4:5], s9, v181, v[69:70]
	v_mov_b32_e32 v78, s7
	s_movk_i32 s7, 0x1000
	v_mov_b32_e32 v73, v75
	v_add_co_u32_e32 v68, vcc, s7, v70
	v_lshlrev_b64 v[72:73], 4, v[72:73]
	v_addc_co_u32_e32 v69, vcc, 0, v71, vcc
	v_mov_b32_e32 v75, v76
	v_lshlrev_b64 v[74:75], 4, v[74:75]
	v_add_co_u32_e32 v90, vcc, s6, v72
	v_addc_co_u32_e32 v91, vcc, v78, v73, vcc
	global_load_dwordx4 v[68:71], v[68:69], off offset:384
	v_add_co_u32_e32 v72, vcc, v90, v74
	s_mul_i32 s2, s8, 0x1c0
	v_addc_co_u32_e32 v73, vcc, v91, v75, vcc
	v_mov_b32_e32 v79, s3
	v_add_co_u32_e32 v74, vcc, s2, v72
	v_addc_co_u32_e32 v75, vcc, v73, v79, vcc
	v_mov_b32_e32 v80, s3
	v_add_co_u32_e32 v76, vcc, s2, v74
	;; [unrolled: 3-line block ×3, first 2 shown]
	v_addc_co_u32_e32 v79, vcc, v77, v81, vcc
	s_mov_b32 s0, 0x606a63be
	s_mov_b32 s1, 0x3f6a98ef
	ds_read_b128 v[64:67], v182 offset:4480
	s_waitcnt vmcnt(10) lgkmcnt(6)
	v_mul_f64 v[80:81], v[22:23], v[2:3]
	v_mul_f64 v[2:3], v[20:21], v[2:3]
	s_waitcnt vmcnt(9) lgkmcnt(5)
	v_mul_f64 v[82:83], v[26:27], v[6:7]
	v_mul_f64 v[6:7], v[24:25], v[6:7]
	;; [unrolled: 3-line block ×4, first 2 shown]
	v_fma_f64 v[20:21], v[20:21], v[0:1], v[80:81]
	v_fma_f64 v[2:3], v[0:1], v[22:23], -v[2:3]
	v_fma_f64 v[22:23], v[24:25], v[4:5], v[82:83]
	v_fma_f64 v[6:7], v[4:5], v[26:27], -v[6:7]
	;; [unrolled: 2-line block ×4, first 2 shown]
	s_waitcnt vmcnt(6) lgkmcnt(2)
	v_mul_f64 v[88:89], v[42:43], v[18:19]
	v_mul_f64 v[18:19], v[40:41], v[18:19]
	;; [unrolled: 1-line block ×10, first 2 shown]
	v_fma_f64 v[20:21], v[40:41], v[16:17], v[88:89]
	v_fma_f64 v[16:17], v[16:17], v[42:43], -v[18:19]
	s_waitcnt vmcnt(5) lgkmcnt(1)
	v_mul_f64 v[18:19], v[46:47], v[38:39]
	v_mul_f64 v[22:23], v[44:45], v[38:39]
	global_store_dwordx4 v[72:73], v[0:3], off
	global_store_dwordx4 v[74:75], v[4:7], off
	;; [unrolled: 1-line block ×4, first 2 shown]
	ds_read_b128 v[4:7], v182 offset:2688
	ds_read_b128 v[8:11], v182 offset:3136
	v_mul_f64 v[0:1], v[20:21], s[0:1]
	v_mul_f64 v[2:3], v[16:17], s[0:1]
	v_fma_f64 v[12:13], v[44:45], v[36:37], v[18:19]
	v_fma_f64 v[14:15], v[36:37], v[46:47], -v[22:23]
	s_waitcnt vmcnt(8) lgkmcnt(1)
	v_mul_f64 v[16:17], v[6:7], v[50:51]
	v_mul_f64 v[18:19], v[4:5], v[50:51]
	v_mov_b32_e32 v21, s3
	v_add_co_u32_e32 v20, vcc, s2, v78
	v_addc_co_u32_e32 v21, vcc, v79, v21, vcc
	global_store_dwordx4 v[20:21], v[0:3], off
	v_fma_f64 v[4:5], v[4:5], v[48:49], v[16:17]
	v_mul_f64 v[0:1], v[12:13], s[0:1]
	v_mul_f64 v[2:3], v[14:15], s[0:1]
	v_fma_f64 v[6:7], v[48:49], v[6:7], -v[18:19]
	s_waitcnt vmcnt(8) lgkmcnt(0)
	v_mul_f64 v[12:13], v[10:11], v[54:55]
	v_mul_f64 v[14:15], v[8:9], v[54:55]
	v_mov_b32_e32 v22, s3
	v_add_co_u32_e32 v16, vcc, s2, v20
	v_addc_co_u32_e32 v17, vcc, v21, v22, vcc
	global_store_dwordx4 v[16:17], v[0:3], off
	v_mov_b32_e32 v18, s3
	v_mul_f64 v[0:1], v[4:5], s[0:1]
	v_mul_f64 v[2:3], v[6:7], s[0:1]
	v_fma_f64 v[4:5], v[8:9], v[52:53], v[12:13]
	v_fma_f64 v[6:7], v[52:53], v[10:11], -v[14:15]
	v_add_co_u32_e32 v12, vcc, s2, v16
	v_addc_co_u32_e32 v13, vcc, v17, v18, vcc
	ds_read_b128 v[8:11], v182 offset:4032
	global_store_dwordx4 v[12:13], v[0:3], off
	v_mul_f64 v[4:5], v[4:5], s[0:1]
	v_mul_f64 v[6:7], v[6:7], s[0:1]
	ds_read_b128 v[0:3], v182 offset:3584
	v_add_co_u32_e32 v12, vcc, s2, v12
	v_addc_co_u32_e32 v13, vcc, v13, v18, vcc
	s_waitcnt vmcnt(9) lgkmcnt(0)
	v_mul_f64 v[14:15], v[2:3], v[58:59]
	v_mul_f64 v[16:17], v[0:1], v[58:59]
	global_store_dwordx4 v[12:13], v[4:7], off
	v_or_b32_e32 v20, 0xe0, v181
	s_waitcnt vmcnt(9)
	v_mul_f64 v[5:6], v[10:11], v[62:63]
	v_mad_u64_u32 v[18:19], s[4:5], s8, v20, 0
	v_fma_f64 v[0:1], v[0:1], v[56:57], v[14:15]
	v_mov_b32_e32 v4, v19
	v_fma_f64 v[2:3], v[56:57], v[2:3], -v[16:17]
	v_mad_u64_u32 v[14:15], s[4:5], s9, v20, v[4:5]
	v_mul_f64 v[15:16], v[8:9], v[62:63]
	v_fma_f64 v[4:5], v[8:9], v[60:61], v[5:6]
	s_waitcnt vmcnt(8)
	v_mul_f64 v[6:7], v[66:67], v[70:71]
	v_mul_f64 v[8:9], v[64:65], v[70:71]
	;; [unrolled: 1-line block ×4, first 2 shown]
	v_mov_b32_e32 v19, v14
	v_lshlrev_b64 v[17:18], 4, v[18:19]
	v_fma_f64 v[10:11], v[60:61], v[10:11], -v[15:16]
	v_add_co_u32_e32 v14, vcc, v90, v17
	v_fma_f64 v[6:7], v[64:65], v[68:69], v[6:7]
	v_fma_f64 v[8:9], v[68:69], v[66:67], -v[8:9]
	v_addc_co_u32_e32 v15, vcc, v91, v18, vcc
	global_store_dwordx4 v[14:15], v[0:3], off
	s_nop 0
	v_mul_f64 v[0:1], v[4:5], s[0:1]
	v_mul_f64 v[2:3], v[10:11], s[0:1]
	v_mov_b32_e32 v4, 0x380
	v_mad_u64_u32 v[10:11], s[4:5], s8, v4, v[12:13]
	v_mul_f64 v[4:5], v[6:7], s[0:1]
	v_mul_f64 v[6:7], v[8:9], s[0:1]
	s_mul_i32 s4, s9, 0x380
	v_add_u32_e32 v11, s4, v11
	global_store_dwordx4 v[10:11], v[0:3], off
	s_nop 0
	v_mov_b32_e32 v1, s3
	v_add_co_u32_e32 v0, vcc, s2, v10
	v_addc_co_u32_e32 v1, vcc, v11, v1, vcc
	global_store_dwordx4 v[0:1], v[4:7], off
.LBB0_23:
	s_endpgm
	.section	.rodata,"a",@progbits
	.p2align	6, 0x0
	.amdhsa_kernel bluestein_single_back_len308_dim1_dp_op_CI_CI
		.amdhsa_group_segment_fixed_size 4928
		.amdhsa_private_segment_fixed_size 0
		.amdhsa_kernarg_size 104
		.amdhsa_user_sgpr_count 6
		.amdhsa_user_sgpr_private_segment_buffer 1
		.amdhsa_user_sgpr_dispatch_ptr 0
		.amdhsa_user_sgpr_queue_ptr 0
		.amdhsa_user_sgpr_kernarg_segment_ptr 1
		.amdhsa_user_sgpr_dispatch_id 0
		.amdhsa_user_sgpr_flat_scratch_init 0
		.amdhsa_user_sgpr_private_segment_size 0
		.amdhsa_uses_dynamic_stack 0
		.amdhsa_system_sgpr_private_segment_wavefront_offset 0
		.amdhsa_system_sgpr_workgroup_id_x 1
		.amdhsa_system_sgpr_workgroup_id_y 0
		.amdhsa_system_sgpr_workgroup_id_z 0
		.amdhsa_system_sgpr_workgroup_info 0
		.amdhsa_system_vgpr_workitem_id 0
		.amdhsa_next_free_vgpr 256
		.amdhsa_next_free_sgpr 42
		.amdhsa_reserve_vcc 1
		.amdhsa_reserve_flat_scratch 0
		.amdhsa_float_round_mode_32 0
		.amdhsa_float_round_mode_16_64 0
		.amdhsa_float_denorm_mode_32 3
		.amdhsa_float_denorm_mode_16_64 3
		.amdhsa_dx10_clamp 1
		.amdhsa_ieee_mode 1
		.amdhsa_fp16_overflow 0
		.amdhsa_exception_fp_ieee_invalid_op 0
		.amdhsa_exception_fp_denorm_src 0
		.amdhsa_exception_fp_ieee_div_zero 0
		.amdhsa_exception_fp_ieee_overflow 0
		.amdhsa_exception_fp_ieee_underflow 0
		.amdhsa_exception_fp_ieee_inexact 0
		.amdhsa_exception_int_div_zero 0
	.end_amdhsa_kernel
	.text
.Lfunc_end0:
	.size	bluestein_single_back_len308_dim1_dp_op_CI_CI, .Lfunc_end0-bluestein_single_back_len308_dim1_dp_op_CI_CI
                                        ; -- End function
	.section	.AMDGPU.csdata,"",@progbits
; Kernel info:
; codeLenInByte = 12660
; NumSgprs: 46
; NumVgprs: 256
; ScratchSize: 0
; MemoryBound: 0
; FloatMode: 240
; IeeeMode: 1
; LDSByteSize: 4928 bytes/workgroup (compile time only)
; SGPRBlocks: 5
; VGPRBlocks: 63
; NumSGPRsForWavesPerEU: 46
; NumVGPRsForWavesPerEU: 256
; Occupancy: 1
; WaveLimiterHint : 1
; COMPUTE_PGM_RSRC2:SCRATCH_EN: 0
; COMPUTE_PGM_RSRC2:USER_SGPR: 6
; COMPUTE_PGM_RSRC2:TRAP_HANDLER: 0
; COMPUTE_PGM_RSRC2:TGID_X_EN: 1
; COMPUTE_PGM_RSRC2:TGID_Y_EN: 0
; COMPUTE_PGM_RSRC2:TGID_Z_EN: 0
; COMPUTE_PGM_RSRC2:TIDIG_COMP_CNT: 0
	.type	__hip_cuid_e045017f848d65b8,@object ; @__hip_cuid_e045017f848d65b8
	.section	.bss,"aw",@nobits
	.globl	__hip_cuid_e045017f848d65b8
__hip_cuid_e045017f848d65b8:
	.byte	0                               ; 0x0
	.size	__hip_cuid_e045017f848d65b8, 1

	.ident	"AMD clang version 19.0.0git (https://github.com/RadeonOpenCompute/llvm-project roc-6.4.0 25133 c7fe45cf4b819c5991fe208aaa96edf142730f1d)"
	.section	".note.GNU-stack","",@progbits
	.addrsig
	.addrsig_sym __hip_cuid_e045017f848d65b8
	.amdgpu_metadata
---
amdhsa.kernels:
  - .args:
      - .actual_access:  read_only
        .address_space:  global
        .offset:         0
        .size:           8
        .value_kind:     global_buffer
      - .actual_access:  read_only
        .address_space:  global
        .offset:         8
        .size:           8
        .value_kind:     global_buffer
      - .actual_access:  read_only
        .address_space:  global
        .offset:         16
        .size:           8
        .value_kind:     global_buffer
      - .actual_access:  read_only
        .address_space:  global
        .offset:         24
        .size:           8
        .value_kind:     global_buffer
      - .actual_access:  read_only
        .address_space:  global
        .offset:         32
        .size:           8
        .value_kind:     global_buffer
      - .offset:         40
        .size:           8
        .value_kind:     by_value
      - .address_space:  global
        .offset:         48
        .size:           8
        .value_kind:     global_buffer
      - .address_space:  global
        .offset:         56
        .size:           8
        .value_kind:     global_buffer
      - .address_space:  global
        .offset:         64
        .size:           8
        .value_kind:     global_buffer
      - .address_space:  global
        .offset:         72
        .size:           8
        .value_kind:     global_buffer
      - .offset:         80
        .size:           4
        .value_kind:     by_value
      - .address_space:  global
        .offset:         88
        .size:           8
        .value_kind:     global_buffer
      - .address_space:  global
        .offset:         96
        .size:           8
        .value_kind:     global_buffer
    .group_segment_fixed_size: 4928
    .kernarg_segment_align: 8
    .kernarg_segment_size: 104
    .language:       OpenCL C
    .language_version:
      - 2
      - 0
    .max_flat_workgroup_size: 44
    .name:           bluestein_single_back_len308_dim1_dp_op_CI_CI
    .private_segment_fixed_size: 0
    .sgpr_count:     46
    .sgpr_spill_count: 0
    .symbol:         bluestein_single_back_len308_dim1_dp_op_CI_CI.kd
    .uniform_work_group_size: 1
    .uses_dynamic_stack: false
    .vgpr_count:     256
    .vgpr_spill_count: 0
    .wavefront_size: 64
amdhsa.target:   amdgcn-amd-amdhsa--gfx906
amdhsa.version:
  - 1
  - 2
...

	.end_amdgpu_metadata
